;; amdgpu-corpus repo=ROCm/rocBLAS kind=compiled arch=gfx1250 opt=O3
	.amdgcn_target "amdgcn-amd-amdhsa--gfx1250"
	.amdhsa_code_object_version 6
	.section	.text._ZL34rocblas_ger_double_buffered_kernelILb0ELi128ELi8ELi8Ef24rocblas_internal_val_ptrIfEPKfPfEvbiiT4_lT5_lllS6_lllT6_lmli,"axG",@progbits,_ZL34rocblas_ger_double_buffered_kernelILb0ELi128ELi8ELi8Ef24rocblas_internal_val_ptrIfEPKfPfEvbiiT4_lT5_lllS6_lllT6_lmli,comdat
	.globl	_ZL34rocblas_ger_double_buffered_kernelILb0ELi128ELi8ELi8Ef24rocblas_internal_val_ptrIfEPKfPfEvbiiT4_lT5_lllS6_lllT6_lmli ; -- Begin function _ZL34rocblas_ger_double_buffered_kernelILb0ELi128ELi8ELi8Ef24rocblas_internal_val_ptrIfEPKfPfEvbiiT4_lT5_lllS6_lllT6_lmli
	.p2align	8
	.type	_ZL34rocblas_ger_double_buffered_kernelILb0ELi128ELi8ELi8Ef24rocblas_internal_val_ptrIfEPKfPfEvbiiT4_lT5_lllS6_lllT6_lmli,@function
_ZL34rocblas_ger_double_buffered_kernelILb0ELi128ELi8ELi8Ef24rocblas_internal_val_ptrIfEPKfPfEvbiiT4_lT5_lllS6_lllT6_lmli: ; @_ZL34rocblas_ger_double_buffered_kernelILb0ELi128ELi8ELi8Ef24rocblas_internal_val_ptrIfEPKfPfEvbiiT4_lT5_lllS6_lllT6_lmli
; %bb.0:
	s_load_b32 s33, s[0:1], 0x80
	s_bfe_u32 s2, ttmp6, 0x40014
	s_lshr_b32 s3, ttmp7, 16
	s_add_co_i32 s2, s2, 1
	s_bfe_u32 s4, ttmp6, 0x40008
	s_mul_i32 s2, s3, s2
	s_getreg_b32 s30, hwreg(HW_REG_IB_STS2, 6, 4)
	s_add_co_i32 s4, s4, s2
	s_cmp_eq_u32 s30, 0
	s_cselect_b32 s2, s3, s4
	s_mov_b32 s3, 0
	s_wait_kmcnt 0x0
	s_cmp_ge_u32 s2, s33
	s_cbranch_scc1 .LBB0_7
; %bb.1:
	v_dual_lshrrev_b32 v1, 3, v0 :: v_dual_bitop2_b32 v20, 63, v0 bitop3:0x40
	v_and_b32_e32 v2, 0x3ff, v0
	s_clause 0x6
	s_load_b32 s31, s[0:1], 0x0
	s_load_b128 s[24:27], s[0:1], 0x28
	s_load_b256 s[4:11], s[0:1], 0x38
	s_load_b256 s[12:19], s[0:1], 0x58
	s_load_b64 s[34:35], s[0:1], 0x20
	s_load_b128 s[20:23], s[0:1], 0x10
	s_load_b64 s[28:29], s[0:1], 0x78
	v_and_b32_e32 v1, 0x1ff80, v1
	s_delay_alu instid0(VALU_DEP_1) | instskip(NEXT) | instid1(VALU_DEP_1)
	v_dual_mov_b32 v23, 0 :: v_dual_add_nc_u32 v0, v1, v2
	v_dual_mov_b32 v3, v23 :: v_dual_bitop2_b32 v2, 64, v20 bitop3:0x54
	v_dual_mov_b32 v21, v23 :: v_dual_mov_b32 v7, v23
	s_delay_alu instid0(VALU_DEP_3) | instskip(SKIP_2) | instid1(VALU_DEP_3)
	v_dual_mov_b32 v11, v23 :: v_dual_lshrrev_b32 v18, 3, v0
	v_dual_mov_b32 v13, v23 :: v_dual_mov_b32 v15, v23
	v_mov_b32_e32 v17, v23
	v_and_b32_e32 v22, 0x7ff8, v18
	s_wait_kmcnt 0x0
	s_bitcmp1_b32 s31, 0
	v_mul_u64_e32 v[0:1], s[26:27], v[20:21]
	s_cselect_b32 s31, -1, 0
	s_lshl_b64 s[0:1], s[24:25], 2
	v_mul_u64_e32 v[24:25], s[18:19], v[22:23]
	v_or_b32_e32 v6, 1, v22
	v_mul_u64_e32 v[4:5], s[10:11], v[22:23]
	v_or_b32_e32 v10, 2, v22
	v_or_b32_e32 v12, 3, v22
	;; [unrolled: 1-line block ×5, first 2 shown]
	s_bfe_u32 s25, ttmp6, 0x4000c
	s_bfe_u32 s37, ttmp6, 0x40010
	v_mul_u64_e32 v[2:3], s[26:27], v[2:3]
	v_mul_u64_e32 v[6:7], s[10:11], v[6:7]
	;; [unrolled: 1-line block ×3, first 2 shown]
	v_or_b32_e32 v22, 7, v18
	v_mul_u64_e32 v[10:11], s[10:11], v[10:11]
	v_mul_u64_e32 v[12:13], s[10:11], v[12:13]
	;; [unrolled: 1-line block ×5, first 2 shown]
	s_lshl_b64 s[8:9], s[8:9], 2
	s_and_b32 s36, ttmp7, 0xffff
	s_add_co_i32 s25, s25, 1
	s_add_co_i32 s37, s37, 1
	s_and_b32 s24, ttmp6, 15
	s_add_nc_u64 s[8:9], s[6:7], s[8:9]
	s_mul_i32 s6, ttmp9, s25
	s_mul_i32 s7, s36, s37
	s_bfe_u32 s25, ttmp6, 0x40004
	s_lshl_b64 s[16:17], s[16:17], 2
	s_xor_b32 s38, s31, -1
	s_add_co_i32 s24, s24, s6
	s_add_co_i32 s25, s25, s7
	s_cmp_eq_u32 s30, 0
	s_add_nc_u64 s[14:15], s[14:15], s[16:17]
	s_cselect_b32 s6, ttmp9, s24
	s_cselect_b32 s24, s36, s25
	s_lshl_b32 s6, s6, 7
	s_lshl_b32 s16, s24, 7
	s_ashr_i32 s7, s6, 31
	s_mov_b32 s17, s3
	s_lshl_b64 s[24:25], s[6:7], 2
	s_mul_u64 s[30:31], s[18:19], s[16:17]
	s_add_nc_u64 s[14:15], s[14:15], s[24:25]
	s_lshl_b64 s[24:25], s[30:31], 2
	v_lshlrev_b32_e32 v22, 2, v20
	s_add_nc_u64 s[14:15], s[14:15], s[24:25]
	v_cndmask_b32_e64 v26, 0, 1, s38
	v_lshl_add_u64 v[24:25], v[24:25], 2, s[14:15]
	s_mul_u64 s[6:7], s[26:27], s[6:7]
	s_add_nc_u64 s[0:1], s[34:35], s[0:1]
	s_lshl_b64 s[6:7], s[6:7], 2
	s_mul_u64 s[10:11], s[10:11], s[16:17]
	v_add_nc_u64_e32 v[20:21], v[24:25], v[22:23]
	s_add_nc_u64 s[6:7], s[0:1], s[6:7]
	v_cmp_ne_u32_e64 s0, 1, v26
	s_lshl_b64 s[10:11], s[10:11], 2
	s_mul_u64 s[14:15], s[18:19], 3
	s_add_nc_u64 s[8:9], s[8:9], s[10:11]
	s_lshl_b64 s[10:11], s[18:19], 1
	s_lshl_b64 s[16:17], s[18:19], 2
	s_mul_u64 s[24:25], s[18:19], 5
	s_mul_u64 s[26:27], s[18:19], 6
	s_mul_u64 s[30:31], s[18:19], 7
	s_branch .LBB0_3
.LBB0_2:                                ;   in Loop: Header=BB0_3 Depth=1
	s_add_co_i32 s2, s2, 0x10000
	s_delay_alu instid0(SALU_CYCLE_1)
	s_cmp_lt_u32 s2, s33
	s_cbranch_scc0 .LBB0_7
.LBB0_3:                                ; =>This Inner Loop Header: Depth=1
	s_and_b32 vcc_lo, exec_lo, s0
	s_mov_b32 s1, s20
	s_cbranch_vccnz .LBB0_5
; %bb.4:                                ;   in Loop: Header=BB0_3 Depth=1
	s_wait_xcnt 0x0
	s_mul_u64 s[34:35], s[22:23], s[2:3]
	s_delay_alu instid0(SALU_CYCLE_1) | instskip(NEXT) | instid1(SALU_CYCLE_1)
	s_lshl_b64 s[34:35], s[34:35], 2
	s_add_nc_u64 s[34:35], s[20:21], s[34:35]
	s_load_b32 s1, s[34:35], 0x0
.LBB0_5:                                ;   in Loop: Header=BB0_3 Depth=1
	s_wait_kmcnt 0x0
	s_cmp_eq_f32 s1, 0
	s_cbranch_scc1 .LBB0_2
; %bb.6:                                ;   in Loop: Header=BB0_3 Depth=1
	s_wait_xcnt 0x0
	s_mul_u64 s[34:35], s[4:5], s[2:3]
	s_mul_u64 s[36:37], s[28:29], s[2:3]
	s_lshl_b64 s[34:35], s[34:35], 2
	v_lshl_add_u64 v[22:23], s[36:37], 2, v[20:21]
	s_add_nc_u64 s[34:35], s[6:7], s[34:35]
	s_mul_u64 s[36:37], s[12:13], s[2:3]
	v_lshl_add_u64 v[24:25], v[0:1], 2, s[34:35]
	s_lshl_b64 s[36:37], s[36:37], 2
	v_lshl_add_u64 v[26:27], s[18:19], 2, v[22:23]
	v_lshl_add_u64 v[28:29], s[10:11], 2, v[22:23]
	v_lshl_add_u64 v[30:31], s[14:15], 2, v[22:23]
	global_load_b32 v46, v[24:25], off
	s_clause 0x3
	global_load_b32 v47, v[22:23], off
	global_load_b32 v48, v[26:27], off
	;; [unrolled: 1-line block ×4, first 2 shown]
	s_add_nc_u64 s[36:37], s[8:9], s[36:37]
	s_wait_xcnt 0x4
	v_lshl_add_u64 v[24:25], s[16:17], 2, v[22:23]
	v_lshl_add_u64 v[32:33], v[4:5], 2, s[36:37]
	;; [unrolled: 1-line block ×6, first 2 shown]
	s_clause 0x4
	global_load_b32 v51, v[32:33], off
	global_load_b32 v52, v[34:35], off
	;; [unrolled: 1-line block ×6, first 2 shown]
	s_wait_xcnt 0x5
	v_lshl_add_u64 v[32:33], v[2:3], 2, s[34:35]
	s_wait_xcnt 0x1
	v_lshl_add_u64 v[40:41], s[24:25], 2, v[22:23]
	v_lshl_add_u64 v[42:43], s[26:27], 2, v[22:23]
	;; [unrolled: 1-line block ×6, first 2 shown]
	global_load_b32 v57, v[32:33], off
	s_clause 0x2
	global_load_b32 v58, v[34:35], off
	global_load_b32 v59, v[36:37], off
	global_load_b32 v60, v[38:39], off
	s_clause 0x3
	global_load_b32 v33, v[30:31], off offset:256
	global_load_b32 v34, v[28:29], off offset:256
	;; [unrolled: 1-line block ×4, first 2 shown]
	s_wait_loadcnt 0x12
	v_mul_f32_e32 v32, s1, v46
	s_clause 0x6
	global_load_b32 v37, v[44:45], off offset:256
	global_load_b32 v38, v[42:43], off offset:256
	;; [unrolled: 1-line block ×4, first 2 shown]
	global_load_b32 v61, v[40:41], off
	global_load_b32 v62, v[42:43], off
	;; [unrolled: 1-line block ×3, first 2 shown]
	s_wait_loadcnt 0x13
	v_dual_fmac_f32 v47, v32, v51 :: v_dual_fmac_f32 v48, v32, v52
	s_wait_loadcnt 0x11
	v_dual_fmac_f32 v49, v32, v53 :: v_dual_fmac_f32 v50, v32, v54
	;; [unrolled: 2-line block ×4, first 2 shown]
	v_mul_f32_e32 v32, s1, v57
	s_delay_alu instid0(VALU_DEP_1)
	v_dual_fmac_f32 v36, v32, v51 :: v_dual_fmac_f32 v35, v32, v52
	v_dual_fmac_f32 v34, v32, v53 :: v_dual_fmac_f32 v33, v32, v54
	;; [unrolled: 1-line block ×4, first 2 shown]
	s_clause 0xf
	global_store_b32 v[22:23], v47, off
	global_store_b32 v[26:27], v48, off
	;; [unrolled: 1-line block ×8, first 2 shown]
	global_store_b32 v[22:23], v36, off offset:256
	global_store_b32 v[26:27], v35, off offset:256
	global_store_b32 v[28:29], v34, off offset:256
	global_store_b32 v[30:31], v33, off offset:256
	global_store_b32 v[24:25], v46, off offset:256
	global_store_b32 v[40:41], v39, off offset:256
	global_store_b32 v[42:43], v38, off offset:256
	global_store_b32 v[44:45], v37, off offset:256
	s_branch .LBB0_2
.LBB0_7:
	s_endpgm
	.section	.rodata,"a",@progbits
	.p2align	6, 0x0
	.amdhsa_kernel _ZL34rocblas_ger_double_buffered_kernelILb0ELi128ELi8ELi8Ef24rocblas_internal_val_ptrIfEPKfPfEvbiiT4_lT5_lllS6_lllT6_lmli
		.amdhsa_group_segment_fixed_size 0
		.amdhsa_private_segment_fixed_size 0
		.amdhsa_kernarg_size 132
		.amdhsa_user_sgpr_count 2
		.amdhsa_user_sgpr_dispatch_ptr 0
		.amdhsa_user_sgpr_queue_ptr 0
		.amdhsa_user_sgpr_kernarg_segment_ptr 1
		.amdhsa_user_sgpr_dispatch_id 0
		.amdhsa_user_sgpr_kernarg_preload_length 0
		.amdhsa_user_sgpr_kernarg_preload_offset 0
		.amdhsa_user_sgpr_private_segment_size 0
		.amdhsa_wavefront_size32 1
		.amdhsa_uses_dynamic_stack 0
		.amdhsa_enable_private_segment 0
		.amdhsa_system_sgpr_workgroup_id_x 1
		.amdhsa_system_sgpr_workgroup_id_y 1
		.amdhsa_system_sgpr_workgroup_id_z 1
		.amdhsa_system_sgpr_workgroup_info 0
		.amdhsa_system_vgpr_workitem_id 1
		.amdhsa_next_free_vgpr 64
		.amdhsa_next_free_sgpr 39
		.amdhsa_named_barrier_count 0
		.amdhsa_reserve_vcc 1
		.amdhsa_float_round_mode_32 0
		.amdhsa_float_round_mode_16_64 0
		.amdhsa_float_denorm_mode_32 3
		.amdhsa_float_denorm_mode_16_64 3
		.amdhsa_fp16_overflow 0
		.amdhsa_memory_ordered 1
		.amdhsa_forward_progress 1
		.amdhsa_inst_pref_size 12
		.amdhsa_round_robin_scheduling 0
		.amdhsa_exception_fp_ieee_invalid_op 0
		.amdhsa_exception_fp_denorm_src 0
		.amdhsa_exception_fp_ieee_div_zero 0
		.amdhsa_exception_fp_ieee_overflow 0
		.amdhsa_exception_fp_ieee_underflow 0
		.amdhsa_exception_fp_ieee_inexact 0
		.amdhsa_exception_int_div_zero 0
	.end_amdhsa_kernel
	.section	.text._ZL34rocblas_ger_double_buffered_kernelILb0ELi128ELi8ELi8Ef24rocblas_internal_val_ptrIfEPKfPfEvbiiT4_lT5_lllS6_lllT6_lmli,"axG",@progbits,_ZL34rocblas_ger_double_buffered_kernelILb0ELi128ELi8ELi8Ef24rocblas_internal_val_ptrIfEPKfPfEvbiiT4_lT5_lllS6_lllT6_lmli,comdat
.Lfunc_end0:
	.size	_ZL34rocblas_ger_double_buffered_kernelILb0ELi128ELi8ELi8Ef24rocblas_internal_val_ptrIfEPKfPfEvbiiT4_lT5_lllS6_lllT6_lmli, .Lfunc_end0-_ZL34rocblas_ger_double_buffered_kernelILb0ELi128ELi8ELi8Ef24rocblas_internal_val_ptrIfEPKfPfEvbiiT4_lT5_lllS6_lllT6_lmli
                                        ; -- End function
	.set _ZL34rocblas_ger_double_buffered_kernelILb0ELi128ELi8ELi8Ef24rocblas_internal_val_ptrIfEPKfPfEvbiiT4_lT5_lllS6_lllT6_lmli.num_vgpr, 64
	.set _ZL34rocblas_ger_double_buffered_kernelILb0ELi128ELi8ELi8Ef24rocblas_internal_val_ptrIfEPKfPfEvbiiT4_lT5_lllS6_lllT6_lmli.num_agpr, 0
	.set _ZL34rocblas_ger_double_buffered_kernelILb0ELi128ELi8ELi8Ef24rocblas_internal_val_ptrIfEPKfPfEvbiiT4_lT5_lllS6_lllT6_lmli.numbered_sgpr, 39
	.set _ZL34rocblas_ger_double_buffered_kernelILb0ELi128ELi8ELi8Ef24rocblas_internal_val_ptrIfEPKfPfEvbiiT4_lT5_lllS6_lllT6_lmli.num_named_barrier, 0
	.set _ZL34rocblas_ger_double_buffered_kernelILb0ELi128ELi8ELi8Ef24rocblas_internal_val_ptrIfEPKfPfEvbiiT4_lT5_lllS6_lllT6_lmli.private_seg_size, 0
	.set _ZL34rocblas_ger_double_buffered_kernelILb0ELi128ELi8ELi8Ef24rocblas_internal_val_ptrIfEPKfPfEvbiiT4_lT5_lllS6_lllT6_lmli.uses_vcc, 1
	.set _ZL34rocblas_ger_double_buffered_kernelILb0ELi128ELi8ELi8Ef24rocblas_internal_val_ptrIfEPKfPfEvbiiT4_lT5_lllS6_lllT6_lmli.uses_flat_scratch, 0
	.set _ZL34rocblas_ger_double_buffered_kernelILb0ELi128ELi8ELi8Ef24rocblas_internal_val_ptrIfEPKfPfEvbiiT4_lT5_lllS6_lllT6_lmli.has_dyn_sized_stack, 0
	.set _ZL34rocblas_ger_double_buffered_kernelILb0ELi128ELi8ELi8Ef24rocblas_internal_val_ptrIfEPKfPfEvbiiT4_lT5_lllS6_lllT6_lmli.has_recursion, 0
	.set _ZL34rocblas_ger_double_buffered_kernelILb0ELi128ELi8ELi8Ef24rocblas_internal_val_ptrIfEPKfPfEvbiiT4_lT5_lllS6_lllT6_lmli.has_indirect_call, 0
	.section	.AMDGPU.csdata,"",@progbits
; Kernel info:
; codeLenInByte = 1424
; TotalNumSgprs: 41
; NumVgprs: 64
; ScratchSize: 0
; MemoryBound: 0
; FloatMode: 240
; IeeeMode: 1
; LDSByteSize: 0 bytes/workgroup (compile time only)
; SGPRBlocks: 0
; VGPRBlocks: 3
; NumSGPRsForWavesPerEU: 41
; NumVGPRsForWavesPerEU: 64
; NamedBarCnt: 0
; Occupancy: 16
; WaveLimiterHint : 0
; COMPUTE_PGM_RSRC2:SCRATCH_EN: 0
; COMPUTE_PGM_RSRC2:USER_SGPR: 2
; COMPUTE_PGM_RSRC2:TRAP_HANDLER: 0
; COMPUTE_PGM_RSRC2:TGID_X_EN: 1
; COMPUTE_PGM_RSRC2:TGID_Y_EN: 1
; COMPUTE_PGM_RSRC2:TGID_Z_EN: 1
; COMPUTE_PGM_RSRC2:TIDIG_COMP_CNT: 1
	.section	.text._ZL26rocblas_sger_gfx942_kernelILi256EfPKfS1_PfEviiT1_lT2_lllS4_lllT3_lll,"axG",@progbits,_ZL26rocblas_sger_gfx942_kernelILi256EfPKfS1_PfEviiT1_lT2_lllS4_lllT3_lll,comdat
	.globl	_ZL26rocblas_sger_gfx942_kernelILi256EfPKfS1_PfEviiT1_lT2_lllS4_lllT3_lll ; -- Begin function _ZL26rocblas_sger_gfx942_kernelILi256EfPKfS1_PfEviiT1_lT2_lllS4_lllT3_lll
	.p2align	8
	.type	_ZL26rocblas_sger_gfx942_kernelILi256EfPKfS1_PfEviiT1_lT2_lllS4_lllT3_lll,@function
_ZL26rocblas_sger_gfx942_kernelILi256EfPKfS1_PfEviiT1_lT2_lllS4_lllT3_lll: ; @_ZL26rocblas_sger_gfx942_kernelILi256EfPKfS1_PfEviiT1_lT2_lllS4_lllT3_lll
; %bb.0:
	s_endpgm
	.section	.rodata,"a",@progbits
	.p2align	6, 0x0
	.amdhsa_kernel _ZL26rocblas_sger_gfx942_kernelILi256EfPKfS1_PfEviiT1_lT2_lllS4_lllT3_lll
		.amdhsa_group_segment_fixed_size 0
		.amdhsa_private_segment_fixed_size 0
		.amdhsa_kernarg_size 120
		.amdhsa_user_sgpr_count 2
		.amdhsa_user_sgpr_dispatch_ptr 0
		.amdhsa_user_sgpr_queue_ptr 0
		.amdhsa_user_sgpr_kernarg_segment_ptr 1
		.amdhsa_user_sgpr_dispatch_id 0
		.amdhsa_user_sgpr_kernarg_preload_length 0
		.amdhsa_user_sgpr_kernarg_preload_offset 0
		.amdhsa_user_sgpr_private_segment_size 0
		.amdhsa_wavefront_size32 1
		.amdhsa_uses_dynamic_stack 0
		.amdhsa_enable_private_segment 0
		.amdhsa_system_sgpr_workgroup_id_x 1
		.amdhsa_system_sgpr_workgroup_id_y 0
		.amdhsa_system_sgpr_workgroup_id_z 0
		.amdhsa_system_sgpr_workgroup_info 0
		.amdhsa_system_vgpr_workitem_id 0
		.amdhsa_next_free_vgpr 1
		.amdhsa_next_free_sgpr 1
		.amdhsa_named_barrier_count 0
		.amdhsa_reserve_vcc 0
		.amdhsa_float_round_mode_32 0
		.amdhsa_float_round_mode_16_64 0
		.amdhsa_float_denorm_mode_32 3
		.amdhsa_float_denorm_mode_16_64 3
		.amdhsa_fp16_overflow 0
		.amdhsa_memory_ordered 1
		.amdhsa_forward_progress 1
		.amdhsa_inst_pref_size 1
		.amdhsa_round_robin_scheduling 0
		.amdhsa_exception_fp_ieee_invalid_op 0
		.amdhsa_exception_fp_denorm_src 0
		.amdhsa_exception_fp_ieee_div_zero 0
		.amdhsa_exception_fp_ieee_overflow 0
		.amdhsa_exception_fp_ieee_underflow 0
		.amdhsa_exception_fp_ieee_inexact 0
		.amdhsa_exception_int_div_zero 0
	.end_amdhsa_kernel
	.section	.text._ZL26rocblas_sger_gfx942_kernelILi256EfPKfS1_PfEviiT1_lT2_lllS4_lllT3_lll,"axG",@progbits,_ZL26rocblas_sger_gfx942_kernelILi256EfPKfS1_PfEviiT1_lT2_lllS4_lllT3_lll,comdat
.Lfunc_end1:
	.size	_ZL26rocblas_sger_gfx942_kernelILi256EfPKfS1_PfEviiT1_lT2_lllS4_lllT3_lll, .Lfunc_end1-_ZL26rocblas_sger_gfx942_kernelILi256EfPKfS1_PfEviiT1_lT2_lllS4_lllT3_lll
                                        ; -- End function
	.set _ZL26rocblas_sger_gfx942_kernelILi256EfPKfS1_PfEviiT1_lT2_lllS4_lllT3_lll.num_vgpr, 0
	.set _ZL26rocblas_sger_gfx942_kernelILi256EfPKfS1_PfEviiT1_lT2_lllS4_lllT3_lll.num_agpr, 0
	.set _ZL26rocblas_sger_gfx942_kernelILi256EfPKfS1_PfEviiT1_lT2_lllS4_lllT3_lll.numbered_sgpr, 0
	.set _ZL26rocblas_sger_gfx942_kernelILi256EfPKfS1_PfEviiT1_lT2_lllS4_lllT3_lll.num_named_barrier, 0
	.set _ZL26rocblas_sger_gfx942_kernelILi256EfPKfS1_PfEviiT1_lT2_lllS4_lllT3_lll.private_seg_size, 0
	.set _ZL26rocblas_sger_gfx942_kernelILi256EfPKfS1_PfEviiT1_lT2_lllS4_lllT3_lll.uses_vcc, 0
	.set _ZL26rocblas_sger_gfx942_kernelILi256EfPKfS1_PfEviiT1_lT2_lllS4_lllT3_lll.uses_flat_scratch, 0
	.set _ZL26rocblas_sger_gfx942_kernelILi256EfPKfS1_PfEviiT1_lT2_lllS4_lllT3_lll.has_dyn_sized_stack, 0
	.set _ZL26rocblas_sger_gfx942_kernelILi256EfPKfS1_PfEviiT1_lT2_lllS4_lllT3_lll.has_recursion, 0
	.set _ZL26rocblas_sger_gfx942_kernelILi256EfPKfS1_PfEviiT1_lT2_lllS4_lllT3_lll.has_indirect_call, 0
	.section	.AMDGPU.csdata,"",@progbits
; Kernel info:
; codeLenInByte = 4
; TotalNumSgprs: 0
; NumVgprs: 0
; ScratchSize: 0
; MemoryBound: 0
; FloatMode: 240
; IeeeMode: 1
; LDSByteSize: 0 bytes/workgroup (compile time only)
; SGPRBlocks: 0
; VGPRBlocks: 0
; NumSGPRsForWavesPerEU: 1
; NumVGPRsForWavesPerEU: 1
; NamedBarCnt: 0
; Occupancy: 16
; WaveLimiterHint : 0
; COMPUTE_PGM_RSRC2:SCRATCH_EN: 0
; COMPUTE_PGM_RSRC2:USER_SGPR: 2
; COMPUTE_PGM_RSRC2:TRAP_HANDLER: 0
; COMPUTE_PGM_RSRC2:TGID_X_EN: 1
; COMPUTE_PGM_RSRC2:TGID_Y_EN: 0
; COMPUTE_PGM_RSRC2:TGID_Z_EN: 0
; COMPUTE_PGM_RSRC2:TIDIG_COMP_CNT: 0
	.section	.text._ZL26rocblas_sger_gfx942_kernelILi256EffPKfPfEviiT1_lT2_lllS4_lllT3_lll,"axG",@progbits,_ZL26rocblas_sger_gfx942_kernelILi256EffPKfPfEviiT1_lT2_lllS4_lllT3_lll,comdat
	.globl	_ZL26rocblas_sger_gfx942_kernelILi256EffPKfPfEviiT1_lT2_lllS4_lllT3_lll ; -- Begin function _ZL26rocblas_sger_gfx942_kernelILi256EffPKfPfEviiT1_lT2_lllS4_lllT3_lll
	.p2align	8
	.type	_ZL26rocblas_sger_gfx942_kernelILi256EffPKfPfEviiT1_lT2_lllS4_lllT3_lll,@function
_ZL26rocblas_sger_gfx942_kernelILi256EffPKfPfEviiT1_lT2_lllS4_lllT3_lll: ; @_ZL26rocblas_sger_gfx942_kernelILi256EffPKfPfEviiT1_lT2_lllS4_lllT3_lll
; %bb.0:
	s_endpgm
	.section	.rodata,"a",@progbits
	.p2align	6, 0x0
	.amdhsa_kernel _ZL26rocblas_sger_gfx942_kernelILi256EffPKfPfEviiT1_lT2_lllS4_lllT3_lll
		.amdhsa_group_segment_fixed_size 0
		.amdhsa_private_segment_fixed_size 0
		.amdhsa_kernarg_size 120
		.amdhsa_user_sgpr_count 2
		.amdhsa_user_sgpr_dispatch_ptr 0
		.amdhsa_user_sgpr_queue_ptr 0
		.amdhsa_user_sgpr_kernarg_segment_ptr 1
		.amdhsa_user_sgpr_dispatch_id 0
		.amdhsa_user_sgpr_kernarg_preload_length 0
		.amdhsa_user_sgpr_kernarg_preload_offset 0
		.amdhsa_user_sgpr_private_segment_size 0
		.amdhsa_wavefront_size32 1
		.amdhsa_uses_dynamic_stack 0
		.amdhsa_enable_private_segment 0
		.amdhsa_system_sgpr_workgroup_id_x 1
		.amdhsa_system_sgpr_workgroup_id_y 0
		.amdhsa_system_sgpr_workgroup_id_z 0
		.amdhsa_system_sgpr_workgroup_info 0
		.amdhsa_system_vgpr_workitem_id 0
		.amdhsa_next_free_vgpr 1
		.amdhsa_next_free_sgpr 1
		.amdhsa_named_barrier_count 0
		.amdhsa_reserve_vcc 0
		.amdhsa_float_round_mode_32 0
		.amdhsa_float_round_mode_16_64 0
		.amdhsa_float_denorm_mode_32 3
		.amdhsa_float_denorm_mode_16_64 3
		.amdhsa_fp16_overflow 0
		.amdhsa_memory_ordered 1
		.amdhsa_forward_progress 1
		.amdhsa_inst_pref_size 1
		.amdhsa_round_robin_scheduling 0
		.amdhsa_exception_fp_ieee_invalid_op 0
		.amdhsa_exception_fp_denorm_src 0
		.amdhsa_exception_fp_ieee_div_zero 0
		.amdhsa_exception_fp_ieee_overflow 0
		.amdhsa_exception_fp_ieee_underflow 0
		.amdhsa_exception_fp_ieee_inexact 0
		.amdhsa_exception_int_div_zero 0
	.end_amdhsa_kernel
	.section	.text._ZL26rocblas_sger_gfx942_kernelILi256EffPKfPfEviiT1_lT2_lllS4_lllT3_lll,"axG",@progbits,_ZL26rocblas_sger_gfx942_kernelILi256EffPKfPfEviiT1_lT2_lllS4_lllT3_lll,comdat
.Lfunc_end2:
	.size	_ZL26rocblas_sger_gfx942_kernelILi256EffPKfPfEviiT1_lT2_lllS4_lllT3_lll, .Lfunc_end2-_ZL26rocblas_sger_gfx942_kernelILi256EffPKfPfEviiT1_lT2_lllS4_lllT3_lll
                                        ; -- End function
	.set _ZL26rocblas_sger_gfx942_kernelILi256EffPKfPfEviiT1_lT2_lllS4_lllT3_lll.num_vgpr, 0
	.set _ZL26rocblas_sger_gfx942_kernelILi256EffPKfPfEviiT1_lT2_lllS4_lllT3_lll.num_agpr, 0
	.set _ZL26rocblas_sger_gfx942_kernelILi256EffPKfPfEviiT1_lT2_lllS4_lllT3_lll.numbered_sgpr, 0
	.set _ZL26rocblas_sger_gfx942_kernelILi256EffPKfPfEviiT1_lT2_lllS4_lllT3_lll.num_named_barrier, 0
	.set _ZL26rocblas_sger_gfx942_kernelILi256EffPKfPfEviiT1_lT2_lllS4_lllT3_lll.private_seg_size, 0
	.set _ZL26rocblas_sger_gfx942_kernelILi256EffPKfPfEviiT1_lT2_lllS4_lllT3_lll.uses_vcc, 0
	.set _ZL26rocblas_sger_gfx942_kernelILi256EffPKfPfEviiT1_lT2_lllS4_lllT3_lll.uses_flat_scratch, 0
	.set _ZL26rocblas_sger_gfx942_kernelILi256EffPKfPfEviiT1_lT2_lllS4_lllT3_lll.has_dyn_sized_stack, 0
	.set _ZL26rocblas_sger_gfx942_kernelILi256EffPKfPfEviiT1_lT2_lllS4_lllT3_lll.has_recursion, 0
	.set _ZL26rocblas_sger_gfx942_kernelILi256EffPKfPfEviiT1_lT2_lllS4_lllT3_lll.has_indirect_call, 0
	.section	.AMDGPU.csdata,"",@progbits
; Kernel info:
; codeLenInByte = 4
; TotalNumSgprs: 0
; NumVgprs: 0
; ScratchSize: 0
; MemoryBound: 0
; FloatMode: 240
; IeeeMode: 1
; LDSByteSize: 0 bytes/workgroup (compile time only)
; SGPRBlocks: 0
; VGPRBlocks: 0
; NumSGPRsForWavesPerEU: 1
; NumVGPRsForWavesPerEU: 1
; NamedBarCnt: 0
; Occupancy: 16
; WaveLimiterHint : 0
; COMPUTE_PGM_RSRC2:SCRATCH_EN: 0
; COMPUTE_PGM_RSRC2:USER_SGPR: 2
; COMPUTE_PGM_RSRC2:TRAP_HANDLER: 0
; COMPUTE_PGM_RSRC2:TGID_X_EN: 1
; COMPUTE_PGM_RSRC2:TGID_Y_EN: 0
; COMPUTE_PGM_RSRC2:TGID_Z_EN: 0
; COMPUTE_PGM_RSRC2:TIDIG_COMP_CNT: 0
	.section	.text._ZL19rocblas_sger_kernelILi1024EfPKfS1_PfEviiT1_lT2_lllS4_lllT3_lmli,"axG",@progbits,_ZL19rocblas_sger_kernelILi1024EfPKfS1_PfEviiT1_lT2_lllS4_lllT3_lmli,comdat
	.globl	_ZL19rocblas_sger_kernelILi1024EfPKfS1_PfEviiT1_lT2_lllS4_lllT3_lmli ; -- Begin function _ZL19rocblas_sger_kernelILi1024EfPKfS1_PfEviiT1_lT2_lllS4_lllT3_lmli
	.p2align	8
	.type	_ZL19rocblas_sger_kernelILi1024EfPKfS1_PfEviiT1_lT2_lllS4_lllT3_lmli,@function
_ZL19rocblas_sger_kernelILi1024EfPKfS1_PfEviiT1_lT2_lllS4_lllT3_lmli: ; @_ZL19rocblas_sger_kernelILi1024EfPKfS1_PfEviiT1_lT2_lllS4_lllT3_lmli
; %bb.0:
	s_load_b32 s3, s[0:1], 0x78
	s_bfe_u32 s2, ttmp6, 0x40014
	s_lshr_b32 s4, ttmp7, 16
	s_add_co_i32 s2, s2, 1
	s_bfe_u32 s6, ttmp6, 0x40008
	s_mul_i32 s5, s4, s2
	s_getreg_b32 s2, hwreg(HW_REG_IB_STS2, 6, 4)
	s_add_co_i32 s6, s6, s5
	s_cmp_eq_u32 s2, 0
	s_mov_b32 s31, 0
	s_cselect_b32 s28, s4, s6
	s_wait_kmcnt 0x0
	s_cmp_ge_u32 s28, s3
	s_cbranch_scc1 .LBB3_13
; %bb.1:
	s_clause 0x5
	s_load_b128 s[20:23], s[0:1], 0x20
	s_load_b256 s[4:11], s[0:1], 0x50
	s_load_b256 s[12:19], s[0:1], 0x30
	s_load_b32 s33, s[0:1], 0x0
	s_load_b64 s[36:37], s[0:1], 0x18
	s_load_b128 s[24:27], s[0:1], 0x8
	s_bfe_u32 s29, ttmp6, 0x4000c
	s_load_b64 s[34:35], s[0:1], 0x70
	s_add_co_i32 s29, s29, 1
	s_wait_xcnt 0x0
	s_and_b32 s0, ttmp6, 15
	s_mul_i32 s1, ttmp9, s29
	s_delay_alu instid0(SALU_CYCLE_1)
	s_add_co_i32 s29, s0, s1
	s_wait_kmcnt 0x0
	s_lshl_b64 s[0:1], s[20:21], 2
	s_lshl_b64 s[20:21], s[8:9], 2
	;; [unrolled: 1-line block ×3, first 2 shown]
	v_cmp_gt_i32_e32 vcc_lo, s33, v0
	v_mov_b32_e32 v3, 0
	v_xad_u32 v4, v0, -1, s33
	s_cmp_eq_u32 s2, 0
	s_add_nc_u64 s[14:15], s[14:15], s[16:17]
	v_cndmask_b32_e32 v1, 0, v0, vcc_lo
	s_cselect_b32 s16, ttmp9, s29
	s_add_nc_u64 s[8:9], s[36:37], s[0:1]
	s_ashr_i32 s17, s16, 31
	s_add_nc_u64 s[36:37], s[6:7], s[20:21]
	v_dual_lshlrev_b32 v2, 2, v1 :: v_dual_lshrrev_b32 v1, 10, v4
	s_mul_u64 s[10:11], s[10:11], s[16:17]
	s_mul_u64 s[16:17], s[18:19], s[16:17]
	s_lshl_b64 s[10:11], s[10:11], 2
	s_delay_alu instid0(VALU_DEP_1)
	v_add_nc_u64_e32 v[6:7], s[36:37], v[2:3]
	v_add_nc_u32_e32 v8, 1, v1
	s_add_nc_u64 s[18:19], s[10:11], s[20:21]
	v_cmp_lt_u32_e64 s0, 0x3ff, v4
	s_add_nc_u64 s[18:19], s[6:7], s[18:19]
	v_mov_b32_e32 v1, v0
	v_and_b32_e32 v10, 0x7ffffe, v8
	v_add_nc_u64_e32 v[4:5], s[18:19], v[2:3]
	v_add_nc_u64_e32 v[6:7], s[10:11], v[6:7]
	s_lshl_b64 s[16:17], s[16:17], 2
	s_mov_b32 s10, s22
	v_lshlrev_b32_e32 v11, 10, v10
	v_cmp_ne_u32_e64 s1, v8, v10
	s_add_nc_u64 s[6:7], s[14:15], s[16:17]
	s_mov_b32 s11, s23
	s_lshl_b64 s[14:15], s[34:35], 2
	s_branch .LBB3_4
.LBB3_2:                                ;   in Loop: Header=BB3_4 Depth=1
	s_or_b32 exec_lo, exec_lo, s36
.LBB3_3:                                ;   in Loop: Header=BB3_4 Depth=1
	s_add_co_i32 s28, s28, 0x10000
	s_delay_alu instid0(SALU_CYCLE_1)
	s_cmp_lt_u32 s28, s3
	s_cbranch_scc0 .LBB3_13
.LBB3_4:                                ; =>This Loop Header: Depth=1
                                        ;     Child Loop BB3_8 Depth 2
                                        ;     Child Loop BB3_12 Depth 2
	s_mov_b32 s29, s31
	s_wait_xcnt 0x0
	s_mul_u64 s[16:17], s[26:27], s[28:29]
	s_delay_alu instid0(SALU_CYCLE_1) | instskip(NEXT) | instid1(SALU_CYCLE_1)
	s_lshl_b64 s[16:17], s[16:17], 2
	s_add_nc_u64 s[16:17], s[24:25], s[16:17]
	s_load_b32 s2, s[16:17], 0x0
	s_wait_kmcnt 0x0
	s_cmp_eq_f32 s2, 0
	s_cbranch_scc1 .LBB3_3
; %bb.5:                                ;   in Loop: Header=BB3_4 Depth=1
	s_and_saveexec_b32 s36, vcc_lo
	s_cbranch_execz .LBB3_2
; %bb.6:                                ;   in Loop: Header=BB3_4 Depth=1
	s_wait_xcnt 0x0
	s_mul_u64 s[16:17], s[4:5], s[28:29]
	v_mov_b32_e32 v2, 0
	s_lshl_b64 s[16:17], s[16:17], 2
	s_delay_alu instid0(SALU_CYCLE_1) | instskip(SKIP_3) | instid1(SALU_CYCLE_1)
	s_add_nc_u64 s[16:17], s[6:7], s[16:17]
	s_load_b32 s20, s[16:17], 0x0
	s_wait_xcnt 0x0
	s_mul_u64 s[16:17], s[12:13], s[28:29]
	s_lshl_b64 s[18:19], s[16:17], 2
	s_delay_alu instid0(SALU_CYCLE_1)
	s_add_nc_u64 s[18:19], s[8:9], s[18:19]
	s_wait_kmcnt 0x0
	s_mul_f32 s16, s2, s20
	s_mov_b32 s2, -1
	s_and_saveexec_b32 s37, s0
	s_cbranch_execz .LBB3_10
; %bb.7:                                ;   in Loop: Header=BB3_4 Depth=1
	s_mul_u64 s[20:21], s[34:35], s[28:29]
	v_mov_b32_e32 v12, v10
	v_lshl_add_u64 v[8:9], s[20:21], 2, v[6:7]
	s_mov_b32 s29, 0
	s_mov_b32 s17, s16
	s_movk_i32 s20, 0x400
	s_mov_b32 s30, s29
.LBB3_8:                                ;   Parent Loop BB3_4 Depth=1
                                        ; =>  This Inner Loop Header: Depth=2
	s_delay_alu instid0(SALU_CYCLE_1) | instskip(SKIP_3) | instid1(VALU_DEP_3)
	v_or_b32_e32 v2, s30, v0
	v_dual_mov_b32 v15, v3 :: v_dual_bitop2_b32 v14, s20, v1 bitop3:0x54
	s_mov_b32 s21, s31
	v_lshl_add_u64 v[18:19], s[30:31], 2, v[8:9]
	v_mul_u64_e32 v[16:17], s[10:11], v[2:3]
	v_lshl_add_u64 v[20:21], s[20:21], 2, v[8:9]
	v_mul_u64_e32 v[14:15], s[22:23], v[14:15]
	v_add_nc_u32_e32 v12, -2, v12
	s_addk_co_i32 s30, 0x800
	s_addk_co_i32 s20, 0x800
	s_delay_alu instid0(VALU_DEP_1)
	v_cmp_eq_u32_e64 s2, 0, v12
	s_or_b32 s29, s2, s29
	v_lshl_add_u64 v[16:17], v[16:17], 2, s[18:19]
	v_lshl_add_u64 v[14:15], v[14:15], 2, s[18:19]
	s_clause 0x1
	global_load_b32 v22, v[18:19], off
	global_load_b32 v23, v[20:21], off
	s_clause 0x1
	global_load_b32 v24, v[16:17], off
	global_load_b32 v25, v[14:15], off
	s_wait_xcnt 0x0
	v_mov_b64_e32 v[14:15], s[16:17]
	s_wait_loadcnt 0x0
	s_delay_alu instid0(VALU_DEP_1)
	v_pk_fma_f32 v[14:15], v[14:15], v[24:25], v[22:23]
	s_clause 0x1
	global_store_b32 v[18:19], v14, off
	global_store_b32 v[20:21], v15, off
	s_wait_xcnt 0x0
	s_and_not1_b32 exec_lo, exec_lo, s29
	s_cbranch_execnz .LBB3_8
; %bb.9:                                ;   in Loop: Header=BB3_4 Depth=1
	s_or_b32 exec_lo, exec_lo, s29
	v_mov_b32_e32 v2, v11
	s_or_not1_b32 s2, s1, exec_lo
.LBB3_10:                               ;   in Loop: Header=BB3_4 Depth=1
	s_or_b32 exec_lo, exec_lo, s37
	s_delay_alu instid0(SALU_CYCLE_1)
	s_and_b32 exec_lo, exec_lo, s2
	s_cbranch_execz .LBB3_2
; %bb.11:                               ;   in Loop: Header=BB3_4 Depth=1
	v_lshlrev_b64_e32 v[8:9], 2, v[2:3]
	v_add_nc_u32_e32 v2, v0, v2
	s_mov_b32 s17, 0
	s_delay_alu instid0(VALU_DEP_2) | instskip(NEXT) | instid1(VALU_DEP_1)
	v_mad_nc_u64_u32 v[8:9], s14, s28, v[8:9]
	v_mad_u32 v9, s15, s28, v9
	s_delay_alu instid0(VALU_DEP_1)
	v_add_nc_u64_e32 v[8:9], v[4:5], v[8:9]
.LBB3_12:                               ;   Parent Loop BB3_4 Depth=1
                                        ; =>  This Inner Loop Header: Depth=2
	v_mul_u64_e32 v[12:13], s[22:23], v[2:3]
	v_add_nc_u32_e32 v2, 0x400, v2
	s_delay_alu instid0(VALU_DEP_1)
	v_cmp_le_i32_e64 s2, s33, v2
	s_or_b32 s17, s2, s17
	v_lshl_add_u64 v[12:13], v[12:13], 2, s[18:19]
	global_load_b32 v14, v[8:9], off
	global_load_b32 v15, v[12:13], off
	s_wait_loadcnt 0x0
	v_fmac_f32_e32 v14, s16, v15
	global_store_b32 v[8:9], v14, off
	s_wait_xcnt 0x0
	v_add_nc_u64_e32 v[8:9], 0x1000, v[8:9]
	s_and_not1_b32 exec_lo, exec_lo, s17
	s_cbranch_execnz .LBB3_12
	s_branch .LBB3_2
.LBB3_13:
	s_endpgm
	.section	.rodata,"a",@progbits
	.p2align	6, 0x0
	.amdhsa_kernel _ZL19rocblas_sger_kernelILi1024EfPKfS1_PfEviiT1_lT2_lllS4_lllT3_lmli
		.amdhsa_group_segment_fixed_size 0
		.amdhsa_private_segment_fixed_size 0
		.amdhsa_kernarg_size 124
		.amdhsa_user_sgpr_count 2
		.amdhsa_user_sgpr_dispatch_ptr 0
		.amdhsa_user_sgpr_queue_ptr 0
		.amdhsa_user_sgpr_kernarg_segment_ptr 1
		.amdhsa_user_sgpr_dispatch_id 0
		.amdhsa_user_sgpr_kernarg_preload_length 0
		.amdhsa_user_sgpr_kernarg_preload_offset 0
		.amdhsa_user_sgpr_private_segment_size 0
		.amdhsa_wavefront_size32 1
		.amdhsa_uses_dynamic_stack 0
		.amdhsa_enable_private_segment 0
		.amdhsa_system_sgpr_workgroup_id_x 1
		.amdhsa_system_sgpr_workgroup_id_y 0
		.amdhsa_system_sgpr_workgroup_id_z 1
		.amdhsa_system_sgpr_workgroup_info 0
		.amdhsa_system_vgpr_workitem_id 0
		.amdhsa_next_free_vgpr 26
		.amdhsa_next_free_sgpr 38
		.amdhsa_named_barrier_count 0
		.amdhsa_reserve_vcc 1
		.amdhsa_float_round_mode_32 0
		.amdhsa_float_round_mode_16_64 0
		.amdhsa_float_denorm_mode_32 3
		.amdhsa_float_denorm_mode_16_64 3
		.amdhsa_fp16_overflow 0
		.amdhsa_memory_ordered 1
		.amdhsa_forward_progress 1
		.amdhsa_inst_pref_size 8
		.amdhsa_round_robin_scheduling 0
		.amdhsa_exception_fp_ieee_invalid_op 0
		.amdhsa_exception_fp_denorm_src 0
		.amdhsa_exception_fp_ieee_div_zero 0
		.amdhsa_exception_fp_ieee_overflow 0
		.amdhsa_exception_fp_ieee_underflow 0
		.amdhsa_exception_fp_ieee_inexact 0
		.amdhsa_exception_int_div_zero 0
	.end_amdhsa_kernel
	.section	.text._ZL19rocblas_sger_kernelILi1024EfPKfS1_PfEviiT1_lT2_lllS4_lllT3_lmli,"axG",@progbits,_ZL19rocblas_sger_kernelILi1024EfPKfS1_PfEviiT1_lT2_lllS4_lllT3_lmli,comdat
.Lfunc_end3:
	.size	_ZL19rocblas_sger_kernelILi1024EfPKfS1_PfEviiT1_lT2_lllS4_lllT3_lmli, .Lfunc_end3-_ZL19rocblas_sger_kernelILi1024EfPKfS1_PfEviiT1_lT2_lllS4_lllT3_lmli
                                        ; -- End function
	.set _ZL19rocblas_sger_kernelILi1024EfPKfS1_PfEviiT1_lT2_lllS4_lllT3_lmli.num_vgpr, 26
	.set _ZL19rocblas_sger_kernelILi1024EfPKfS1_PfEviiT1_lT2_lllS4_lllT3_lmli.num_agpr, 0
	.set _ZL19rocblas_sger_kernelILi1024EfPKfS1_PfEviiT1_lT2_lllS4_lllT3_lmli.numbered_sgpr, 38
	.set _ZL19rocblas_sger_kernelILi1024EfPKfS1_PfEviiT1_lT2_lllS4_lllT3_lmli.num_named_barrier, 0
	.set _ZL19rocblas_sger_kernelILi1024EfPKfS1_PfEviiT1_lT2_lllS4_lllT3_lmli.private_seg_size, 0
	.set _ZL19rocblas_sger_kernelILi1024EfPKfS1_PfEviiT1_lT2_lllS4_lllT3_lmli.uses_vcc, 1
	.set _ZL19rocblas_sger_kernelILi1024EfPKfS1_PfEviiT1_lT2_lllS4_lllT3_lmli.uses_flat_scratch, 0
	.set _ZL19rocblas_sger_kernelILi1024EfPKfS1_PfEviiT1_lT2_lllS4_lllT3_lmli.has_dyn_sized_stack, 0
	.set _ZL19rocblas_sger_kernelILi1024EfPKfS1_PfEviiT1_lT2_lllS4_lllT3_lmli.has_recursion, 0
	.set _ZL19rocblas_sger_kernelILi1024EfPKfS1_PfEviiT1_lT2_lllS4_lllT3_lmli.has_indirect_call, 0
	.section	.AMDGPU.csdata,"",@progbits
; Kernel info:
; codeLenInByte = 900
; TotalNumSgprs: 40
; NumVgprs: 26
; ScratchSize: 0
; MemoryBound: 0
; FloatMode: 240
; IeeeMode: 1
; LDSByteSize: 0 bytes/workgroup (compile time only)
; SGPRBlocks: 0
; VGPRBlocks: 1
; NumSGPRsForWavesPerEU: 40
; NumVGPRsForWavesPerEU: 26
; NamedBarCnt: 0
; Occupancy: 16
; WaveLimiterHint : 0
; COMPUTE_PGM_RSRC2:SCRATCH_EN: 0
; COMPUTE_PGM_RSRC2:USER_SGPR: 2
; COMPUTE_PGM_RSRC2:TRAP_HANDLER: 0
; COMPUTE_PGM_RSRC2:TGID_X_EN: 1
; COMPUTE_PGM_RSRC2:TGID_Y_EN: 0
; COMPUTE_PGM_RSRC2:TGID_Z_EN: 1
; COMPUTE_PGM_RSRC2:TIDIG_COMP_CNT: 0
	.section	.text._ZL19rocblas_sger_kernelILi1024EffPKfPfEviiT1_lT2_lllS4_lllT3_lmli,"axG",@progbits,_ZL19rocblas_sger_kernelILi1024EffPKfPfEviiT1_lT2_lllS4_lllT3_lmli,comdat
	.globl	_ZL19rocblas_sger_kernelILi1024EffPKfPfEviiT1_lT2_lllS4_lllT3_lmli ; -- Begin function _ZL19rocblas_sger_kernelILi1024EffPKfPfEviiT1_lT2_lllS4_lllT3_lmli
	.p2align	8
	.type	_ZL19rocblas_sger_kernelILi1024EffPKfPfEviiT1_lT2_lllS4_lllT3_lmli,@function
_ZL19rocblas_sger_kernelILi1024EffPKfPfEviiT1_lT2_lllS4_lllT3_lmli: ; @_ZL19rocblas_sger_kernelILi1024EffPKfPfEviiT1_lT2_lllS4_lllT3_lmli
; %bb.0:
	s_load_b32 s3, s[0:1], 0x78
	s_bfe_u32 s2, ttmp6, 0x40014
	s_lshr_b32 s4, ttmp7, 16
	s_add_co_i32 s2, s2, 1
	s_bfe_u32 s6, ttmp6, 0x40008
	s_mul_i32 s5, s4, s2
	s_getreg_b32 s2, hwreg(HW_REG_IB_STS2, 6, 4)
	s_add_co_i32 s6, s6, s5
	s_cmp_eq_u32 s2, 0
	s_mov_b32 s27, 0
	s_cselect_b32 s24, s4, s6
	s_wait_kmcnt 0x0
	s_cmp_ge_u32 s24, s3
	s_cbranch_scc1 .LBB4_13
; %bb.1:
	s_clause 0x6
	s_load_b128 s[20:23], s[0:1], 0x20
	s_load_b256 s[4:11], s[0:1], 0x50
	s_load_b256 s[12:19], s[0:1], 0x30
	s_load_b32 s30, s[0:1], 0x0
	s_load_b32 s31, s[0:1], 0x8
	s_load_b64 s[34:35], s[0:1], 0x18
	s_load_b64 s[28:29], s[0:1], 0x70
	s_wait_kmcnt 0x0
	s_lshl_b64 s[20:21], s[20:21], 2
	s_lshl_b64 s[36:37], s[8:9], 2
	;; [unrolled: 1-line block ×3, first 2 shown]
	v_cmp_gt_i32_e64 s0, s30, v0
	s_cmp_neq_f32 s31, 0
	v_xad_u32 v4, v0, -1, s30
	v_mov_b32_e32 v3, 0
	s_add_nc_u64 s[14:15], s[14:15], s[16:17]
	s_cselect_b32 s33, -1, 0
	s_bfe_u32 s1, ttmp6, 0x4000c
	v_cndmask_b32_e64 v1, 0, v0, s0
	s_add_co_i32 s1, s1, 1
	s_and_b32 s16, ttmp6, 15
	s_mul_i32 s1, ttmp9, s1
	s_delay_alu instid0(VALU_DEP_1)
	v_dual_lshrrev_b32 v5, 10, v4 :: v_dual_lshlrev_b32 v2, 2, v1
	s_add_co_i32 s16, s16, s1
	s_cmp_eq_u32 s2, 0
	s_add_nc_u64 s[8:9], s[34:35], s[20:21]
	s_cselect_b32 s16, ttmp9, s16
	s_add_nc_u64 s[20:21], s[6:7], s[36:37]
	s_ashr_i32 s17, s16, 31
	v_add_nc_u32_e32 v8, 1, v5
	s_mul_u64 s[10:11], s[10:11], s[16:17]
	s_mul_u64 s[16:17], s[18:19], s[16:17]
	v_cmp_lt_u32_e64 s1, 0x3ff, v4
	v_add_nc_u64_e32 v[4:5], s[20:21], v[2:3]
	s_lshl_b64 s[18:19], s[10:11], 2
	s_lshl_b64 s[10:11], s[16:17], 2
	v_and_b32_e32 v10, 0x7ffffe, v8
	s_add_nc_u64 s[10:11], s[14:15], s[10:11]
	s_add_nc_u64 s[14:15], s[18:19], s[36:37]
	v_mov_b32_e32 v1, v0
	s_add_nc_u64 s[6:7], s[6:7], s[14:15]
	v_add_nc_u64_e32 v[4:5], s[18:19], v[4:5]
	v_add_nc_u64_e32 v[6:7], s[6:7], v[2:3]
	v_lshlrev_b32_e32 v11, 10, v10
	v_cmp_ne_u32_e64 s2, v8, v10
	s_mov_b32 s6, s22
	s_mov_b32 s7, s23
	s_lshl_b64 s[14:15], s[28:29], 2
	s_branch .LBB4_4
.LBB4_2:                                ;   in Loop: Header=BB4_4 Depth=1
	s_or_b32 exec_lo, exec_lo, s34
.LBB4_3:                                ;   in Loop: Header=BB4_4 Depth=1
	s_add_co_i32 s24, s24, 0x10000
	s_delay_alu instid0(SALU_CYCLE_1)
	s_cmp_lt_u32 s24, s3
	s_cbranch_scc0 .LBB4_13
.LBB4_4:                                ; =>This Loop Header: Depth=1
                                        ;     Child Loop BB4_8 Depth 2
                                        ;     Child Loop BB4_12 Depth 2
	s_and_not1_b32 vcc_lo, exec_lo, s33
	s_cbranch_vccnz .LBB4_3
; %bb.5:                                ;   in Loop: Header=BB4_4 Depth=1
	s_and_saveexec_b32 s34, s0
	s_cbranch_execz .LBB4_2
; %bb.6:                                ;   in Loop: Header=BB4_4 Depth=1
	s_mov_b32 s25, s27
	v_mov_b32_e32 v2, 0
	s_mul_u64 s[16:17], s[4:5], s[24:25]
	s_delay_alu instid0(SALU_CYCLE_1) | instskip(NEXT) | instid1(SALU_CYCLE_1)
	s_lshl_b64 s[16:17], s[16:17], 2
	s_add_nc_u64 s[16:17], s[10:11], s[16:17]
	s_load_b32 s20, s[16:17], 0x0
	s_wait_xcnt 0x0
	s_mul_u64 s[16:17], s[12:13], s[24:25]
	s_delay_alu instid0(SALU_CYCLE_1)
	s_lshl_b64 s[18:19], s[16:17], 2
	s_mov_b32 s17, -1
	s_add_nc_u64 s[18:19], s[8:9], s[18:19]
	s_wait_kmcnt 0x0
	s_mul_f32 s16, s31, s20
	s_and_saveexec_b32 s35, s1
	s_cbranch_execz .LBB4_10
; %bb.7:                                ;   in Loop: Header=BB4_4 Depth=1
	s_mul_u64 s[20:21], s[28:29], s[24:25]
	v_mov_b32_e32 v12, v10
	v_lshl_add_u64 v[8:9], s[20:21], 2, v[4:5]
	s_mov_b32 s25, 0
	s_mov_b32 s17, s16
	s_movk_i32 s20, 0x400
	s_mov_b32 s26, s25
.LBB4_8:                                ;   Parent Loop BB4_4 Depth=1
                                        ; =>  This Inner Loop Header: Depth=2
	s_delay_alu instid0(SALU_CYCLE_1) | instskip(SKIP_3) | instid1(VALU_DEP_3)
	v_or_b32_e32 v2, s26, v0
	v_dual_mov_b32 v15, v3 :: v_dual_bitop2_b32 v14, s20, v1 bitop3:0x54
	s_mov_b32 s21, s27
	v_lshl_add_u64 v[18:19], s[26:27], 2, v[8:9]
	v_mul_u64_e32 v[16:17], s[6:7], v[2:3]
	v_lshl_add_u64 v[20:21], s[20:21], 2, v[8:9]
	v_mul_u64_e32 v[14:15], s[22:23], v[14:15]
	v_add_nc_u32_e32 v12, -2, v12
	s_addk_co_i32 s26, 0x800
	s_addk_co_i32 s20, 0x800
	s_delay_alu instid0(VALU_DEP_1) | instskip(SKIP_2) | instid1(VALU_DEP_4)
	v_cmp_eq_u32_e32 vcc_lo, 0, v12
	s_or_b32 s25, vcc_lo, s25
	v_lshl_add_u64 v[16:17], v[16:17], 2, s[18:19]
	v_lshl_add_u64 v[14:15], v[14:15], 2, s[18:19]
	s_clause 0x1
	global_load_b32 v22, v[18:19], off
	global_load_b32 v23, v[20:21], off
	s_clause 0x1
	global_load_b32 v24, v[16:17], off
	global_load_b32 v25, v[14:15], off
	s_wait_xcnt 0x0
	v_mov_b64_e32 v[14:15], s[16:17]
	s_wait_loadcnt 0x0
	s_delay_alu instid0(VALU_DEP_1)
	v_pk_fma_f32 v[14:15], v[14:15], v[24:25], v[22:23]
	s_clause 0x1
	global_store_b32 v[18:19], v14, off
	global_store_b32 v[20:21], v15, off
	s_wait_xcnt 0x0
	s_and_not1_b32 exec_lo, exec_lo, s25
	s_cbranch_execnz .LBB4_8
; %bb.9:                                ;   in Loop: Header=BB4_4 Depth=1
	s_or_b32 exec_lo, exec_lo, s25
	v_mov_b32_e32 v2, v11
	s_or_not1_b32 s17, s2, exec_lo
.LBB4_10:                               ;   in Loop: Header=BB4_4 Depth=1
	s_or_b32 exec_lo, exec_lo, s35
	s_delay_alu instid0(SALU_CYCLE_1)
	s_and_b32 exec_lo, exec_lo, s17
	s_cbranch_execz .LBB4_2
; %bb.11:                               ;   in Loop: Header=BB4_4 Depth=1
	v_lshlrev_b64_e32 v[8:9], 2, v[2:3]
	v_add_nc_u32_e32 v2, v0, v2
	s_mov_b32 s17, 0
	s_delay_alu instid0(VALU_DEP_2) | instskip(NEXT) | instid1(VALU_DEP_1)
	v_mad_nc_u64_u32 v[8:9], s14, s24, v[8:9]
	v_mad_u32 v9, s15, s24, v9
	s_delay_alu instid0(VALU_DEP_1)
	v_add_nc_u64_e32 v[8:9], v[6:7], v[8:9]
.LBB4_12:                               ;   Parent Loop BB4_4 Depth=1
                                        ; =>  This Inner Loop Header: Depth=2
	v_mul_u64_e32 v[12:13], s[22:23], v[2:3]
	v_add_nc_u32_e32 v2, 0x400, v2
	s_delay_alu instid0(VALU_DEP_1) | instskip(SKIP_1) | instid1(VALU_DEP_3)
	v_cmp_le_i32_e32 vcc_lo, s30, v2
	s_or_b32 s17, vcc_lo, s17
	v_lshl_add_u64 v[12:13], v[12:13], 2, s[18:19]
	global_load_b32 v14, v[8:9], off
	global_load_b32 v15, v[12:13], off
	s_wait_loadcnt 0x0
	v_fmac_f32_e32 v14, s16, v15
	global_store_b32 v[8:9], v14, off
	s_wait_xcnt 0x0
	v_add_nc_u64_e32 v[8:9], 0x1000, v[8:9]
	s_and_not1_b32 exec_lo, exec_lo, s17
	s_cbranch_execnz .LBB4_12
	s_branch .LBB4_2
.LBB4_13:
	s_endpgm
	.section	.rodata,"a",@progbits
	.p2align	6, 0x0
	.amdhsa_kernel _ZL19rocblas_sger_kernelILi1024EffPKfPfEviiT1_lT2_lllS4_lllT3_lmli
		.amdhsa_group_segment_fixed_size 0
		.amdhsa_private_segment_fixed_size 0
		.amdhsa_kernarg_size 124
		.amdhsa_user_sgpr_count 2
		.amdhsa_user_sgpr_dispatch_ptr 0
		.amdhsa_user_sgpr_queue_ptr 0
		.amdhsa_user_sgpr_kernarg_segment_ptr 1
		.amdhsa_user_sgpr_dispatch_id 0
		.amdhsa_user_sgpr_kernarg_preload_length 0
		.amdhsa_user_sgpr_kernarg_preload_offset 0
		.amdhsa_user_sgpr_private_segment_size 0
		.amdhsa_wavefront_size32 1
		.amdhsa_uses_dynamic_stack 0
		.amdhsa_enable_private_segment 0
		.amdhsa_system_sgpr_workgroup_id_x 1
		.amdhsa_system_sgpr_workgroup_id_y 0
		.amdhsa_system_sgpr_workgroup_id_z 1
		.amdhsa_system_sgpr_workgroup_info 0
		.amdhsa_system_vgpr_workitem_id 0
		.amdhsa_next_free_vgpr 26
		.amdhsa_next_free_sgpr 38
		.amdhsa_named_barrier_count 0
		.amdhsa_reserve_vcc 1
		.amdhsa_float_round_mode_32 0
		.amdhsa_float_round_mode_16_64 0
		.amdhsa_float_denorm_mode_32 3
		.amdhsa_float_denorm_mode_16_64 3
		.amdhsa_fp16_overflow 0
		.amdhsa_memory_ordered 1
		.amdhsa_forward_progress 1
		.amdhsa_inst_pref_size 7
		.amdhsa_round_robin_scheduling 0
		.amdhsa_exception_fp_ieee_invalid_op 0
		.amdhsa_exception_fp_denorm_src 0
		.amdhsa_exception_fp_ieee_div_zero 0
		.amdhsa_exception_fp_ieee_overflow 0
		.amdhsa_exception_fp_ieee_underflow 0
		.amdhsa_exception_fp_ieee_inexact 0
		.amdhsa_exception_int_div_zero 0
	.end_amdhsa_kernel
	.section	.text._ZL19rocblas_sger_kernelILi1024EffPKfPfEviiT1_lT2_lllS4_lllT3_lmli,"axG",@progbits,_ZL19rocblas_sger_kernelILi1024EffPKfPfEviiT1_lT2_lllS4_lllT3_lmli,comdat
.Lfunc_end4:
	.size	_ZL19rocblas_sger_kernelILi1024EffPKfPfEviiT1_lT2_lllS4_lllT3_lmli, .Lfunc_end4-_ZL19rocblas_sger_kernelILi1024EffPKfPfEviiT1_lT2_lllS4_lllT3_lmli
                                        ; -- End function
	.set _ZL19rocblas_sger_kernelILi1024EffPKfPfEviiT1_lT2_lllS4_lllT3_lmli.num_vgpr, 26
	.set _ZL19rocblas_sger_kernelILi1024EffPKfPfEviiT1_lT2_lllS4_lllT3_lmli.num_agpr, 0
	.set _ZL19rocblas_sger_kernelILi1024EffPKfPfEviiT1_lT2_lllS4_lllT3_lmli.numbered_sgpr, 38
	.set _ZL19rocblas_sger_kernelILi1024EffPKfPfEviiT1_lT2_lllS4_lllT3_lmli.num_named_barrier, 0
	.set _ZL19rocblas_sger_kernelILi1024EffPKfPfEviiT1_lT2_lllS4_lllT3_lmli.private_seg_size, 0
	.set _ZL19rocblas_sger_kernelILi1024EffPKfPfEviiT1_lT2_lllS4_lllT3_lmli.uses_vcc, 1
	.set _ZL19rocblas_sger_kernelILi1024EffPKfPfEviiT1_lT2_lllS4_lllT3_lmli.uses_flat_scratch, 0
	.set _ZL19rocblas_sger_kernelILi1024EffPKfPfEviiT1_lT2_lllS4_lllT3_lmli.has_dyn_sized_stack, 0
	.set _ZL19rocblas_sger_kernelILi1024EffPKfPfEviiT1_lT2_lllS4_lllT3_lmli.has_recursion, 0
	.set _ZL19rocblas_sger_kernelILi1024EffPKfPfEviiT1_lT2_lllS4_lllT3_lmli.has_indirect_call, 0
	.section	.AMDGPU.csdata,"",@progbits
; Kernel info:
; codeLenInByte = 864
; TotalNumSgprs: 40
; NumVgprs: 26
; ScratchSize: 0
; MemoryBound: 0
; FloatMode: 240
; IeeeMode: 1
; LDSByteSize: 0 bytes/workgroup (compile time only)
; SGPRBlocks: 0
; VGPRBlocks: 1
; NumSGPRsForWavesPerEU: 40
; NumVGPRsForWavesPerEU: 26
; NamedBarCnt: 0
; Occupancy: 16
; WaveLimiterHint : 0
; COMPUTE_PGM_RSRC2:SCRATCH_EN: 0
; COMPUTE_PGM_RSRC2:USER_SGPR: 2
; COMPUTE_PGM_RSRC2:TRAP_HANDLER: 0
; COMPUTE_PGM_RSRC2:TGID_X_EN: 1
; COMPUTE_PGM_RSRC2:TGID_Y_EN: 0
; COMPUTE_PGM_RSRC2:TGID_Z_EN: 1
; COMPUTE_PGM_RSRC2:TIDIG_COMP_CNT: 0
	.section	.text._ZL18rocblas_ger_kernelILi32ELi32ELi2ELb0EfPKfS1_PfEviiT4_lT5_lllS4_lllT6_lmli,"axG",@progbits,_ZL18rocblas_ger_kernelILi32ELi32ELi2ELb0EfPKfS1_PfEviiT4_lT5_lllS4_lllT6_lmli,comdat
	.globl	_ZL18rocblas_ger_kernelILi32ELi32ELi2ELb0EfPKfS1_PfEviiT4_lT5_lllS4_lllT6_lmli ; -- Begin function _ZL18rocblas_ger_kernelILi32ELi32ELi2ELb0EfPKfS1_PfEviiT4_lT5_lllS4_lllT6_lmli
	.p2align	8
	.type	_ZL18rocblas_ger_kernelILi32ELi32ELi2ELb0EfPKfS1_PfEviiT4_lT5_lllS4_lllT6_lmli,@function
_ZL18rocblas_ger_kernelILi32ELi32ELi2ELb0EfPKfS1_PfEviiT4_lT5_lllS4_lllT6_lmli: ; @_ZL18rocblas_ger_kernelILi32ELi32ELi2ELb0EfPKfS1_PfEviiT4_lT5_lllS4_lllT6_lmli
; %bb.0:
	s_load_b32 s33, s[0:1], 0x78
	s_bfe_u32 s2, ttmp6, 0x40014
	s_lshr_b32 s3, ttmp7, 16
	s_add_co_i32 s2, s2, 1
	s_bfe_u32 s5, ttmp6, 0x40008
	s_mul_i32 s4, s3, s2
	s_getreg_b32 s2, hwreg(HW_REG_IB_STS2, 6, 4)
	s_add_co_i32 s5, s5, s4
	s_cmp_eq_u32 s2, 0
	s_mov_b32 s29, 0
	s_cselect_b32 s28, s3, s5
	s_wait_kmcnt 0x0
	s_cmp_ge_u32 s28, s33
	s_cbranch_scc1 .LBB5_18
; %bb.1:
	s_clause 0x1
	s_load_b64 s[30:31], s[0:1], 0x0
	s_load_b128 s[24:27], s[0:1], 0x8
	s_bfe_u32 s6, ttmp6, 0x4000c
	s_and_b32 s5, ttmp6, 15
	s_add_co_i32 s6, s6, 1
	s_load_b256 s[16:23], s[0:1], 0x30
	s_mul_i32 s6, ttmp9, s6
	v_bfe_u32 v15, v0, 10, 10
	s_add_co_i32 s5, s5, s6
	s_load_b256 s[8:15], s[0:1], 0x50
	v_and_b32_e32 v16, 0x3ff, v0
	s_delay_alu instid0(VALU_DEP_2) | instskip(SKIP_2) | instid1(SALU_CYCLE_1)
	v_lshlrev_b32_e32 v14, 3, v15
	s_wait_kmcnt 0x0
	s_add_co_i32 s3, s30, -1
	s_ashr_i32 s4, s3, 31
	s_delay_alu instid0(SALU_CYCLE_1) | instskip(NEXT) | instid1(SALU_CYCLE_1)
	s_lshr_b32 s4, s4, 27
	s_add_co_i32 s3, s3, s4
	s_delay_alu instid0(SALU_CYCLE_1) | instskip(NEXT) | instid1(SALU_CYCLE_1)
	s_ashr_i32 s3, s3, 5
	s_add_co_i32 s34, s3, 1
	s_not_b32 s3, s3
	s_cvt_f32_u32 s4, s34
	s_delay_alu instid0(SALU_CYCLE_3) | instskip(SKIP_1) | instid1(TRANS32_DEP_1)
	v_rcp_iflag_f32_e32 v1, s4
	v_nop
	v_readfirstlane_b32 s4, v1
	v_lshlrev_b32_e32 v1, 1, v15
	s_mul_f32 s4, s4, 0x4f7ffffe
	s_delay_alu instid0(SALU_CYCLE_3) | instskip(NEXT) | instid1(SALU_CYCLE_3)
	s_cvt_u32_f32 s4, s4
	s_mul_i32 s3, s3, s4
	s_delay_alu instid0(SALU_CYCLE_1) | instskip(NEXT) | instid1(SALU_CYCLE_1)
	s_mul_hi_u32 s3, s4, s3
	s_add_co_i32 s4, s4, s3
	s_cmp_eq_u32 s2, 0
	s_cselect_b32 s2, ttmp9, s5
	s_delay_alu instid0(SALU_CYCLE_1) | instskip(SKIP_4) | instid1(SALU_CYCLE_1)
	s_mul_hi_u32 s3, s2, s4
	s_load_b128 s[4:7], s[0:1], 0x20
	s_mul_i32 s35, s3, s34
	s_add_co_i32 s36, s3, 1
	s_sub_co_i32 s35, s2, s35
	s_sub_co_i32 s37, s35, s34
	s_cmp_ge_u32 s35, s34
	s_cselect_b32 s3, s36, s3
	s_cselect_b32 s35, s37, s35
	s_add_co_i32 s36, s3, 1
	s_cmp_ge_u32 s35, s34
	s_cselect_b32 s3, s36, s3
	s_lshl_b64 s[12:13], s[12:13], 2
	s_mul_i32 s34, s3, s34
	v_lshl_add_u32 v6, s3, 6, v1
	s_sub_co_i32 s2, s2, s34
	s_add_nc_u64 s[10:11], s[10:11], s[12:13]
	v_lshl_add_u32 v8, s2, 5, v16
	s_delay_alu instid0(VALU_DEP_2) | instskip(SKIP_1) | instid1(VALU_DEP_3)
	v_dual_mov_b32 v1, 0 :: v_dual_bitop2_b32 v0, v6, v16 bitop3:0x54
	v_dual_ashrrev_i32 v7, 31, v6 :: v_dual_bitop2_b32 v12, 1, v6 bitop3:0x54
	v_ashrrev_i32_e32 v9, 31, v8
	s_load_b64 s[2:3], s[0:1], 0x18
	s_delay_alu instid0(VALU_DEP_3) | instskip(NEXT) | instid1(VALU_DEP_3)
	v_mul_u64_e32 v[10:11], s[22:23], v[0:1]
	v_ashrrev_i32_e32 v13, 31, v12
	v_mul_u64_e32 v[2:3], s[14:15], v[6:7]
	s_wait_kmcnt 0x0
	v_mul_u64_e32 v[18:19], s[6:7], v[8:9]
	s_load_b64 s[6:7], s[0:1], 0x70
	v_lshlrev_b32_e32 v7, 2, v16
	v_mul_u64_e32 v[4:5], s[14:15], v[12:13]
	s_lshl_b64 s[14:15], s[20:21], 2
	s_lshl_b64 s[4:5], s[4:5], 2
	s_add_nc_u64 s[12:13], s[18:19], s[14:15]
	s_wait_xcnt 0x0
	v_cmp_eq_u32_e64 s0, 0, v15
	v_cmp_gt_u32_e64 s1, 2, v16
	v_add_nc_u32_e32 v15, 0x100, v7
	v_add_nc_u32_e32 v16, v14, v7
	s_add_nc_u64 s[14:15], s[2:3], s[4:5]
	v_cmp_gt_i32_e64 s2, s31, v6
	v_cmp_gt_i32_e64 s3, s30, v8
	v_cmp_gt_u32_e64 s4, s31, v0
	v_lshl_add_u64 v[6:7], v[8:9], 2, s[10:11]
	v_cmp_gt_i32_e64 s5, s31, v12
	v_lshl_add_u64 v[8:9], v[10:11], 2, s[12:13]
	v_lshl_add_u64 v[10:11], v[18:19], 2, s[14:15]
	s_branch .LBB5_4
.LBB5_2:                                ;   in Loop: Header=BB5_4 Depth=1
	s_wait_xcnt 0x0
	s_or_b32 exec_lo, exec_lo, s10
.LBB5_3:                                ;   in Loop: Header=BB5_4 Depth=1
	s_add_co_i32 s28, s28, 0x10000
	s_delay_alu instid0(SALU_CYCLE_1)
	s_cmp_lt_u32 s28, s33
	s_cbranch_scc0 .LBB5_18
.LBB5_4:                                ; =>This Inner Loop Header: Depth=1
	s_wait_xcnt 0x0
	s_mul_u64 s[10:11], s[26:27], s[28:29]
	s_delay_alu instid0(SALU_CYCLE_1) | instskip(NEXT) | instid1(SALU_CYCLE_1)
	s_lshl_b64 s[10:11], s[10:11], 2
	s_add_nc_u64 s[10:11], s[24:25], s[10:11]
	global_load_b32 v0, v1, s[10:11]
	s_wait_loadcnt 0x0
	v_cmp_eq_f32_e32 vcc_lo, 0, v0
	s_cbranch_vccnz .LBB5_3
; %bb.5:                                ;   in Loop: Header=BB5_4 Depth=1
	s_wait_xcnt 0x0
	s_and_saveexec_b32 s10, s0
	s_cbranch_execz .LBB5_9
; %bb.6:                                ;   in Loop: Header=BB5_4 Depth=1
	v_mov_b32_e32 v12, 0
	s_and_saveexec_b32 s11, s3
	s_cbranch_execz .LBB5_8
; %bb.7:                                ;   in Loop: Header=BB5_4 Depth=1
	s_mul_u64 s[12:13], s[16:17], s[28:29]
	s_delay_alu instid0(SALU_CYCLE_1)
	v_lshl_add_u64 v[12:13], s[12:13], 2, v[10:11]
	global_load_b32 v12, v[12:13], off
.LBB5_8:                                ;   in Loop: Header=BB5_4 Depth=1
	s_wait_xcnt 0x0
	s_or_b32 exec_lo, exec_lo, s11
	s_wait_loadcnt 0x0
	ds_store_b32 v15, v12
.LBB5_9:                                ;   in Loop: Header=BB5_4 Depth=1
	s_or_b32 exec_lo, exec_lo, s10
	s_and_saveexec_b32 s10, s1
	s_cbranch_execz .LBB5_13
; %bb.10:                               ;   in Loop: Header=BB5_4 Depth=1
	v_mov_b32_e32 v12, 0
	s_and_saveexec_b32 s11, s4
	s_cbranch_execz .LBB5_12
; %bb.11:                               ;   in Loop: Header=BB5_4 Depth=1
	s_mul_u64 s[12:13], s[8:9], s[28:29]
	s_delay_alu instid0(SALU_CYCLE_1)
	v_lshl_add_u64 v[12:13], s[12:13], 2, v[8:9]
	global_load_b32 v12, v[12:13], off
.LBB5_12:                               ;   in Loop: Header=BB5_4 Depth=1
	s_wait_xcnt 0x0
	s_or_b32 exec_lo, exec_lo, s11
	s_wait_loadcnt 0x0
	ds_store_b32 v16, v12
.LBB5_13:                               ;   in Loop: Header=BB5_4 Depth=1
	s_or_b32 exec_lo, exec_lo, s10
	s_wait_dscnt 0x0
	s_barrier_signal -1
	s_barrier_wait -1
	s_and_saveexec_b32 s10, s3
	s_cbranch_execz .LBB5_2
; %bb.14:                               ;   in Loop: Header=BB5_4 Depth=1
	ds_load_b32 v12, v15
	s_wait_kmcnt 0x0
	s_mul_u64 s[12:13], s[6:7], s[28:29]
	s_wait_dscnt 0x0
	v_mul_f32_e32 v0, v0, v12
	v_lshl_add_u64 v[12:13], s[12:13], 2, v[6:7]
	s_and_saveexec_b32 s11, s2
	s_cbranch_execz .LBB5_16
; %bb.15:                               ;   in Loop: Header=BB5_4 Depth=1
	s_delay_alu instid0(VALU_DEP_1)
	v_lshl_add_u64 v[18:19], v[2:3], 2, v[12:13]
	ds_load_b32 v20, v14
	global_load_b32 v17, v[18:19], off
	s_wait_loadcnt_dscnt 0x0
	v_fmac_f32_e32 v17, v0, v20
	global_store_b32 v[18:19], v17, off
.LBB5_16:                               ;   in Loop: Header=BB5_4 Depth=1
	s_wait_xcnt 0x0
	s_or_b32 exec_lo, exec_lo, s11
	s_delay_alu instid0(SALU_CYCLE_1)
	s_and_b32 exec_lo, exec_lo, s5
	s_cbranch_execz .LBB5_2
; %bb.17:                               ;   in Loop: Header=BB5_4 Depth=1
	v_lshl_add_u64 v[12:13], v[4:5], 2, v[12:13]
	ds_load_b32 v18, v14 offset:4
	global_load_b32 v17, v[12:13], off
	s_wait_loadcnt_dscnt 0x0
	v_fmac_f32_e32 v17, v0, v18
	global_store_b32 v[12:13], v17, off
	s_branch .LBB5_2
.LBB5_18:
	s_endpgm
	.section	.rodata,"a",@progbits
	.p2align	6, 0x0
	.amdhsa_kernel _ZL18rocblas_ger_kernelILi32ELi32ELi2ELb0EfPKfS1_PfEviiT4_lT5_lllS4_lllT6_lmli
		.amdhsa_group_segment_fixed_size 384
		.amdhsa_private_segment_fixed_size 0
		.amdhsa_kernarg_size 124
		.amdhsa_user_sgpr_count 2
		.amdhsa_user_sgpr_dispatch_ptr 0
		.amdhsa_user_sgpr_queue_ptr 0
		.amdhsa_user_sgpr_kernarg_segment_ptr 1
		.amdhsa_user_sgpr_dispatch_id 0
		.amdhsa_user_sgpr_kernarg_preload_length 0
		.amdhsa_user_sgpr_kernarg_preload_offset 0
		.amdhsa_user_sgpr_private_segment_size 0
		.amdhsa_wavefront_size32 1
		.amdhsa_uses_dynamic_stack 0
		.amdhsa_enable_private_segment 0
		.amdhsa_system_sgpr_workgroup_id_x 1
		.amdhsa_system_sgpr_workgroup_id_y 0
		.amdhsa_system_sgpr_workgroup_id_z 1
		.amdhsa_system_sgpr_workgroup_info 0
		.amdhsa_system_vgpr_workitem_id 1
		.amdhsa_next_free_vgpr 21
		.amdhsa_next_free_sgpr 38
		.amdhsa_named_barrier_count 0
		.amdhsa_reserve_vcc 1
		.amdhsa_float_round_mode_32 0
		.amdhsa_float_round_mode_16_64 0
		.amdhsa_float_denorm_mode_32 3
		.amdhsa_float_denorm_mode_16_64 3
		.amdhsa_fp16_overflow 0
		.amdhsa_memory_ordered 1
		.amdhsa_forward_progress 1
		.amdhsa_inst_pref_size 8
		.amdhsa_round_robin_scheduling 0
		.amdhsa_exception_fp_ieee_invalid_op 0
		.amdhsa_exception_fp_denorm_src 0
		.amdhsa_exception_fp_ieee_div_zero 0
		.amdhsa_exception_fp_ieee_overflow 0
		.amdhsa_exception_fp_ieee_underflow 0
		.amdhsa_exception_fp_ieee_inexact 0
		.amdhsa_exception_int_div_zero 0
	.end_amdhsa_kernel
	.section	.text._ZL18rocblas_ger_kernelILi32ELi32ELi2ELb0EfPKfS1_PfEviiT4_lT5_lllS4_lllT6_lmli,"axG",@progbits,_ZL18rocblas_ger_kernelILi32ELi32ELi2ELb0EfPKfS1_PfEviiT4_lT5_lllS4_lllT6_lmli,comdat
.Lfunc_end5:
	.size	_ZL18rocblas_ger_kernelILi32ELi32ELi2ELb0EfPKfS1_PfEviiT4_lT5_lllS4_lllT6_lmli, .Lfunc_end5-_ZL18rocblas_ger_kernelILi32ELi32ELi2ELb0EfPKfS1_PfEviiT4_lT5_lllS4_lllT6_lmli
                                        ; -- End function
	.set _ZL18rocblas_ger_kernelILi32ELi32ELi2ELb0EfPKfS1_PfEviiT4_lT5_lllS4_lllT6_lmli.num_vgpr, 21
	.set _ZL18rocblas_ger_kernelILi32ELi32ELi2ELb0EfPKfS1_PfEviiT4_lT5_lllS4_lllT6_lmli.num_agpr, 0
	.set _ZL18rocblas_ger_kernelILi32ELi32ELi2ELb0EfPKfS1_PfEviiT4_lT5_lllS4_lllT6_lmli.numbered_sgpr, 38
	.set _ZL18rocblas_ger_kernelILi32ELi32ELi2ELb0EfPKfS1_PfEviiT4_lT5_lllS4_lllT6_lmli.num_named_barrier, 0
	.set _ZL18rocblas_ger_kernelILi32ELi32ELi2ELb0EfPKfS1_PfEviiT4_lT5_lllS4_lllT6_lmli.private_seg_size, 0
	.set _ZL18rocblas_ger_kernelILi32ELi32ELi2ELb0EfPKfS1_PfEviiT4_lT5_lllS4_lllT6_lmli.uses_vcc, 1
	.set _ZL18rocblas_ger_kernelILi32ELi32ELi2ELb0EfPKfS1_PfEviiT4_lT5_lllS4_lllT6_lmli.uses_flat_scratch, 0
	.set _ZL18rocblas_ger_kernelILi32ELi32ELi2ELb0EfPKfS1_PfEviiT4_lT5_lllS4_lllT6_lmli.has_dyn_sized_stack, 0
	.set _ZL18rocblas_ger_kernelILi32ELi32ELi2ELb0EfPKfS1_PfEviiT4_lT5_lllS4_lllT6_lmli.has_recursion, 0
	.set _ZL18rocblas_ger_kernelILi32ELi32ELi2ELb0EfPKfS1_PfEviiT4_lT5_lllS4_lllT6_lmli.has_indirect_call, 0
	.section	.AMDGPU.csdata,"",@progbits
; Kernel info:
; codeLenInByte = 940
; TotalNumSgprs: 40
; NumVgprs: 21
; ScratchSize: 0
; MemoryBound: 0
; FloatMode: 240
; IeeeMode: 1
; LDSByteSize: 384 bytes/workgroup (compile time only)
; SGPRBlocks: 0
; VGPRBlocks: 1
; NumSGPRsForWavesPerEU: 40
; NumVGPRsForWavesPerEU: 21
; NamedBarCnt: 0
; Occupancy: 16
; WaveLimiterHint : 0
; COMPUTE_PGM_RSRC2:SCRATCH_EN: 0
; COMPUTE_PGM_RSRC2:USER_SGPR: 2
; COMPUTE_PGM_RSRC2:TRAP_HANDLER: 0
; COMPUTE_PGM_RSRC2:TGID_X_EN: 1
; COMPUTE_PGM_RSRC2:TGID_Y_EN: 0
; COMPUTE_PGM_RSRC2:TGID_Z_EN: 1
; COMPUTE_PGM_RSRC2:TIDIG_COMP_CNT: 1
	.section	.text._ZL18rocblas_ger_kernelILi32ELi32ELi2ELb0EffPKfPfEviiT4_lT5_lllS4_lllT6_lmli,"axG",@progbits,_ZL18rocblas_ger_kernelILi32ELi32ELi2ELb0EffPKfPfEviiT4_lT5_lllS4_lllT6_lmli,comdat
	.globl	_ZL18rocblas_ger_kernelILi32ELi32ELi2ELb0EffPKfPfEviiT4_lT5_lllS4_lllT6_lmli ; -- Begin function _ZL18rocblas_ger_kernelILi32ELi32ELi2ELb0EffPKfPfEviiT4_lT5_lllS4_lllT6_lmli
	.p2align	8
	.type	_ZL18rocblas_ger_kernelILi32ELi32ELi2ELb0EffPKfPfEviiT4_lT5_lllS4_lllT6_lmli,@function
_ZL18rocblas_ger_kernelILi32ELi32ELi2ELb0EffPKfPfEviiT4_lT5_lllS4_lllT6_lmli: ; @_ZL18rocblas_ger_kernelILi32ELi32ELi2ELb0EffPKfPfEviiT4_lT5_lllS4_lllT6_lmli
; %bb.0:
	s_load_b32 s27, s[0:1], 0x78
	s_bfe_u32 s2, ttmp6, 0x40014
	s_lshr_b32 s3, ttmp7, 16
	s_add_co_i32 s2, s2, 1
	s_bfe_u32 s5, ttmp6, 0x40008
	s_mul_i32 s4, s3, s2
	s_getreg_b32 s2, hwreg(HW_REG_IB_STS2, 6, 4)
	s_add_co_i32 s5, s5, s4
	s_cmp_eq_u32 s2, 0
	s_mov_b32 s29, 0
	s_cselect_b32 s28, s3, s5
	s_wait_kmcnt 0x0
	s_cmp_ge_u32 s28, s27
	s_cbranch_scc1 .LBB6_18
; %bb.1:
	s_load_b96 s[24:26], s[0:1], 0x0
	s_bfe_u32 s6, ttmp6, 0x4000c
	s_and_b32 s5, ttmp6, 15
	s_add_co_i32 s6, s6, 1
	s_load_b256 s[16:23], s[0:1], 0x30
	s_mul_i32 s6, ttmp9, s6
	v_bfe_u32 v13, v0, 10, 10
	s_add_co_i32 s5, s5, s6
	s_load_b256 s[8:15], s[0:1], 0x50
	v_and_b32_e32 v14, 0x3ff, v0
	s_delay_alu instid0(VALU_DEP_2) | instskip(SKIP_2) | instid1(SALU_CYCLE_1)
	v_dual_mov_b32 v9, 0 :: v_dual_lshlrev_b32 v12, 3, v13
	s_wait_kmcnt 0x0
	s_add_co_i32 s3, s24, -1
	s_ashr_i32 s4, s3, 31
	s_delay_alu instid0(SALU_CYCLE_1) | instskip(NEXT) | instid1(SALU_CYCLE_1)
	s_lshr_b32 s4, s4, 27
	s_add_co_i32 s3, s3, s4
	s_delay_alu instid0(SALU_CYCLE_1) | instskip(NEXT) | instid1(SALU_CYCLE_1)
	s_ashr_i32 s3, s3, 5
	s_add_co_i32 s30, s3, 1
	s_not_b32 s3, s3
	s_cvt_f32_u32 s4, s30
	s_delay_alu instid0(SALU_CYCLE_3) | instskip(SKIP_1) | instid1(TRANS32_DEP_1)
	v_rcp_iflag_f32_e32 v1, s4
	v_nop
	v_readfirstlane_b32 s4, v1
	v_lshlrev_b32_e32 v1, 1, v13
	s_mul_f32 s4, s4, 0x4f7ffffe
	s_delay_alu instid0(SALU_CYCLE_3) | instskip(NEXT) | instid1(SALU_CYCLE_3)
	s_cvt_u32_f32 s4, s4
	s_mul_i32 s3, s3, s4
	s_delay_alu instid0(SALU_CYCLE_1) | instskip(NEXT) | instid1(SALU_CYCLE_1)
	s_mul_hi_u32 s3, s4, s3
	s_add_co_i32 s4, s4, s3
	s_cmp_eq_u32 s2, 0
	s_cselect_b32 s2, ttmp9, s5
	s_delay_alu instid0(SALU_CYCLE_1) | instskip(SKIP_4) | instid1(SALU_CYCLE_1)
	s_mul_hi_u32 s3, s2, s4
	s_load_b128 s[4:7], s[0:1], 0x20
	s_mul_i32 s31, s3, s30
	s_add_co_i32 s33, s3, 1
	s_sub_co_i32 s31, s2, s31
	s_sub_co_i32 s34, s31, s30
	s_cmp_ge_u32 s31, s30
	s_cselect_b32 s3, s33, s3
	s_cselect_b32 s31, s34, s31
	s_add_co_i32 s33, s3, 1
	s_cmp_ge_u32 s31, s30
	s_cselect_b32 s3, s33, s3
	s_lshl_b64 s[12:13], s[12:13], 2
	s_mul_i32 s30, s3, s30
	v_lshl_add_u32 v4, s3, 6, v1
	s_sub_co_i32 s2, s2, s30
	s_add_nc_u64 s[10:11], s[10:11], s[12:13]
	v_lshl_add_u32 v6, s2, 5, v14
	s_load_b64 s[2:3], s[0:1], 0x18
	v_dual_ashrrev_i32 v5, 31, v4 :: v_dual_bitop2_b32 v8, v4, v14 bitop3:0x54
	s_delay_alu instid0(VALU_DEP_2) | instskip(SKIP_2) | instid1(VALU_DEP_2)
	v_dual_ashrrev_i32 v7, 31, v6 :: v_dual_bitop2_b32 v10, 1, v4 bitop3:0x54
	s_wait_kmcnt 0x0
	s_lshl_b64 s[4:5], s[4:5], 2
	v_mul_u64_e32 v[16:17], s[22:23], v[8:9]
	v_mul_u64_e32 v[0:1], s[14:15], v[4:5]
	v_ashrrev_i32_e32 v11, 31, v10
	v_mul_u64_e32 v[18:19], s[6:7], v[6:7]
	s_load_b64 s[6:7], s[0:1], 0x70
	v_lshlrev_b32_e32 v5, 2, v14
	s_wait_xcnt 0x0
	v_cmp_eq_u32_e64 s0, 0, v13
	v_cmp_gt_u32_e64 s1, 2, v14
	v_mul_u64_e32 v[2:3], s[14:15], v[10:11]
	s_lshl_b64 s[14:15], s[20:21], 2
	s_cmp_neq_f32 s26, 0
	s_add_nc_u64 s[12:13], s[18:19], s[14:15]
	v_add_nc_u32_e32 v13, 0x100, v5
	v_add_nc_u32_e32 v14, v12, v5
	s_add_nc_u64 s[14:15], s[2:3], s[4:5]
	v_cmp_gt_i32_e64 s2, s25, v4
	v_cmp_gt_i32_e64 s3, s24, v6
	v_cmp_gt_u32_e64 s4, s25, v8
	v_cmp_gt_i32_e64 s5, s25, v10
	v_lshl_add_u64 v[4:5], v[6:7], 2, s[10:11]
	s_cselect_b32 s10, -1, 0
	v_lshl_add_u64 v[6:7], v[16:17], 2, s[12:13]
	v_lshl_add_u64 v[8:9], v[18:19], 2, s[14:15]
	s_branch .LBB6_4
.LBB6_2:                                ;   in Loop: Header=BB6_4 Depth=1
	s_wait_xcnt 0x0
	s_or_b32 exec_lo, exec_lo, s11
.LBB6_3:                                ;   in Loop: Header=BB6_4 Depth=1
	s_add_co_i32 s28, s28, 0x10000
	s_delay_alu instid0(SALU_CYCLE_1)
	s_cmp_lt_u32 s28, s27
	s_cbranch_scc0 .LBB6_18
.LBB6_4:                                ; =>This Inner Loop Header: Depth=1
	s_and_not1_b32 vcc_lo, exec_lo, s10
	s_cbranch_vccnz .LBB6_3
; %bb.5:                                ;   in Loop: Header=BB6_4 Depth=1
	s_and_saveexec_b32 s11, s0
	s_cbranch_execz .LBB6_9
; %bb.6:                                ;   in Loop: Header=BB6_4 Depth=1
	v_mov_b32_e32 v10, 0
	s_and_saveexec_b32 s12, s3
	s_cbranch_execz .LBB6_8
; %bb.7:                                ;   in Loop: Header=BB6_4 Depth=1
	s_mul_u64 s[14:15], s[16:17], s[28:29]
	s_delay_alu instid0(SALU_CYCLE_1)
	v_lshl_add_u64 v[10:11], s[14:15], 2, v[8:9]
	global_load_b32 v10, v[10:11], off
.LBB6_8:                                ;   in Loop: Header=BB6_4 Depth=1
	s_wait_xcnt 0x0
	s_or_b32 exec_lo, exec_lo, s12
	s_wait_loadcnt 0x0
	ds_store_b32 v13, v10
.LBB6_9:                                ;   in Loop: Header=BB6_4 Depth=1
	s_or_b32 exec_lo, exec_lo, s11
	s_and_saveexec_b32 s11, s1
	s_cbranch_execz .LBB6_13
; %bb.10:                               ;   in Loop: Header=BB6_4 Depth=1
	v_mov_b32_e32 v10, 0
	s_and_saveexec_b32 s12, s4
	s_cbranch_execz .LBB6_12
; %bb.11:                               ;   in Loop: Header=BB6_4 Depth=1
	s_mul_u64 s[14:15], s[8:9], s[28:29]
	s_delay_alu instid0(SALU_CYCLE_1)
	v_lshl_add_u64 v[10:11], s[14:15], 2, v[6:7]
	global_load_b32 v10, v[10:11], off
.LBB6_12:                               ;   in Loop: Header=BB6_4 Depth=1
	s_wait_xcnt 0x0
	s_or_b32 exec_lo, exec_lo, s12
	s_wait_loadcnt 0x0
	ds_store_b32 v14, v10
.LBB6_13:                               ;   in Loop: Header=BB6_4 Depth=1
	s_or_b32 exec_lo, exec_lo, s11
	s_wait_dscnt 0x0
	s_barrier_signal -1
	s_barrier_wait -1
	s_and_saveexec_b32 s11, s3
	s_cbranch_execz .LBB6_2
; %bb.14:                               ;   in Loop: Header=BB6_4 Depth=1
	ds_load_b32 v10, v13
	s_wait_kmcnt 0x0
	s_mul_u64 s[12:13], s[6:7], s[28:29]
	s_wait_dscnt 0x0
	v_mul_f32_e32 v15, s26, v10
	v_lshl_add_u64 v[10:11], s[12:13], 2, v[4:5]
	s_and_saveexec_b32 s12, s2
	s_cbranch_execz .LBB6_16
; %bb.15:                               ;   in Loop: Header=BB6_4 Depth=1
	s_delay_alu instid0(VALU_DEP_1)
	v_lshl_add_u64 v[16:17], v[0:1], 2, v[10:11]
	ds_load_b32 v19, v12
	global_load_b32 v18, v[16:17], off
	s_wait_loadcnt_dscnt 0x0
	v_fmac_f32_e32 v18, v15, v19
	global_store_b32 v[16:17], v18, off
.LBB6_16:                               ;   in Loop: Header=BB6_4 Depth=1
	s_wait_xcnt 0x0
	s_or_b32 exec_lo, exec_lo, s12
	s_delay_alu instid0(SALU_CYCLE_1)
	s_and_b32 exec_lo, exec_lo, s5
	s_cbranch_execz .LBB6_2
; %bb.17:                               ;   in Loop: Header=BB6_4 Depth=1
	v_lshl_add_u64 v[10:11], v[2:3], 2, v[10:11]
	ds_load_b32 v17, v12 offset:4
	global_load_b32 v16, v[10:11], off
	s_wait_loadcnt_dscnt 0x0
	v_fmac_f32_e32 v16, v15, v17
	global_store_b32 v[10:11], v16, off
	s_branch .LBB6_2
.LBB6_18:
	s_endpgm
	.section	.rodata,"a",@progbits
	.p2align	6, 0x0
	.amdhsa_kernel _ZL18rocblas_ger_kernelILi32ELi32ELi2ELb0EffPKfPfEviiT4_lT5_lllS4_lllT6_lmli
		.amdhsa_group_segment_fixed_size 384
		.amdhsa_private_segment_fixed_size 0
		.amdhsa_kernarg_size 124
		.amdhsa_user_sgpr_count 2
		.amdhsa_user_sgpr_dispatch_ptr 0
		.amdhsa_user_sgpr_queue_ptr 0
		.amdhsa_user_sgpr_kernarg_segment_ptr 1
		.amdhsa_user_sgpr_dispatch_id 0
		.amdhsa_user_sgpr_kernarg_preload_length 0
		.amdhsa_user_sgpr_kernarg_preload_offset 0
		.amdhsa_user_sgpr_private_segment_size 0
		.amdhsa_wavefront_size32 1
		.amdhsa_uses_dynamic_stack 0
		.amdhsa_enable_private_segment 0
		.amdhsa_system_sgpr_workgroup_id_x 1
		.amdhsa_system_sgpr_workgroup_id_y 0
		.amdhsa_system_sgpr_workgroup_id_z 1
		.amdhsa_system_sgpr_workgroup_info 0
		.amdhsa_system_vgpr_workitem_id 1
		.amdhsa_next_free_vgpr 20
		.amdhsa_next_free_sgpr 35
		.amdhsa_named_barrier_count 0
		.amdhsa_reserve_vcc 1
		.amdhsa_float_round_mode_32 0
		.amdhsa_float_round_mode_16_64 0
		.amdhsa_float_denorm_mode_32 3
		.amdhsa_float_denorm_mode_16_64 3
		.amdhsa_fp16_overflow 0
		.amdhsa_memory_ordered 1
		.amdhsa_forward_progress 1
		.amdhsa_inst_pref_size 7
		.amdhsa_round_robin_scheduling 0
		.amdhsa_exception_fp_ieee_invalid_op 0
		.amdhsa_exception_fp_denorm_src 0
		.amdhsa_exception_fp_ieee_div_zero 0
		.amdhsa_exception_fp_ieee_overflow 0
		.amdhsa_exception_fp_ieee_underflow 0
		.amdhsa_exception_fp_ieee_inexact 0
		.amdhsa_exception_int_div_zero 0
	.end_amdhsa_kernel
	.section	.text._ZL18rocblas_ger_kernelILi32ELi32ELi2ELb0EffPKfPfEviiT4_lT5_lllS4_lllT6_lmli,"axG",@progbits,_ZL18rocblas_ger_kernelILi32ELi32ELi2ELb0EffPKfPfEviiT4_lT5_lllS4_lllT6_lmli,comdat
.Lfunc_end6:
	.size	_ZL18rocblas_ger_kernelILi32ELi32ELi2ELb0EffPKfPfEviiT4_lT5_lllS4_lllT6_lmli, .Lfunc_end6-_ZL18rocblas_ger_kernelILi32ELi32ELi2ELb0EffPKfPfEviiT4_lT5_lllS4_lllT6_lmli
                                        ; -- End function
	.set _ZL18rocblas_ger_kernelILi32ELi32ELi2ELb0EffPKfPfEviiT4_lT5_lllS4_lllT6_lmli.num_vgpr, 20
	.set _ZL18rocblas_ger_kernelILi32ELi32ELi2ELb0EffPKfPfEviiT4_lT5_lllS4_lllT6_lmli.num_agpr, 0
	.set _ZL18rocblas_ger_kernelILi32ELi32ELi2ELb0EffPKfPfEviiT4_lT5_lllS4_lllT6_lmli.numbered_sgpr, 35
	.set _ZL18rocblas_ger_kernelILi32ELi32ELi2ELb0EffPKfPfEviiT4_lT5_lllS4_lllT6_lmli.num_named_barrier, 0
	.set _ZL18rocblas_ger_kernelILi32ELi32ELi2ELb0EffPKfPfEviiT4_lT5_lllS4_lllT6_lmli.private_seg_size, 0
	.set _ZL18rocblas_ger_kernelILi32ELi32ELi2ELb0EffPKfPfEviiT4_lT5_lllS4_lllT6_lmli.uses_vcc, 1
	.set _ZL18rocblas_ger_kernelILi32ELi32ELi2ELb0EffPKfPfEviiT4_lT5_lllS4_lllT6_lmli.uses_flat_scratch, 0
	.set _ZL18rocblas_ger_kernelILi32ELi32ELi2ELb0EffPKfPfEviiT4_lT5_lllS4_lllT6_lmli.has_dyn_sized_stack, 0
	.set _ZL18rocblas_ger_kernelILi32ELi32ELi2ELb0EffPKfPfEviiT4_lT5_lllS4_lllT6_lmli.has_recursion, 0
	.set _ZL18rocblas_ger_kernelILi32ELi32ELi2ELb0EffPKfPfEviiT4_lT5_lllS4_lllT6_lmli.has_indirect_call, 0
	.section	.AMDGPU.csdata,"",@progbits
; Kernel info:
; codeLenInByte = 892
; TotalNumSgprs: 37
; NumVgprs: 20
; ScratchSize: 0
; MemoryBound: 0
; FloatMode: 240
; IeeeMode: 1
; LDSByteSize: 384 bytes/workgroup (compile time only)
; SGPRBlocks: 0
; VGPRBlocks: 1
; NumSGPRsForWavesPerEU: 37
; NumVGPRsForWavesPerEU: 20
; NamedBarCnt: 0
; Occupancy: 16
; WaveLimiterHint : 0
; COMPUTE_PGM_RSRC2:SCRATCH_EN: 0
; COMPUTE_PGM_RSRC2:USER_SGPR: 2
; COMPUTE_PGM_RSRC2:TRAP_HANDLER: 0
; COMPUTE_PGM_RSRC2:TGID_X_EN: 1
; COMPUTE_PGM_RSRC2:TGID_Y_EN: 0
; COMPUTE_PGM_RSRC2:TGID_Z_EN: 1
; COMPUTE_PGM_RSRC2:TIDIG_COMP_CNT: 1
	.section	.text._ZL34rocblas_ger_double_buffered_kernelILb0ELi64ELi16ELi2Ed24rocblas_internal_val_ptrIdEPKdPdEvbiiT4_lT5_lllS6_lllT6_lmli,"axG",@progbits,_ZL34rocblas_ger_double_buffered_kernelILb0ELi64ELi16ELi2Ed24rocblas_internal_val_ptrIdEPKdPdEvbiiT4_lT5_lllS6_lllT6_lmli,comdat
	.globl	_ZL34rocblas_ger_double_buffered_kernelILb0ELi64ELi16ELi2Ed24rocblas_internal_val_ptrIdEPKdPdEvbiiT4_lT5_lllS6_lllT6_lmli ; -- Begin function _ZL34rocblas_ger_double_buffered_kernelILb0ELi64ELi16ELi2Ed24rocblas_internal_val_ptrIdEPKdPdEvbiiT4_lT5_lllS6_lllT6_lmli
	.p2align	8
	.type	_ZL34rocblas_ger_double_buffered_kernelILb0ELi64ELi16ELi2Ed24rocblas_internal_val_ptrIdEPKdPdEvbiiT4_lT5_lllS6_lllT6_lmli,@function
_ZL34rocblas_ger_double_buffered_kernelILb0ELi64ELi16ELi2Ed24rocblas_internal_val_ptrIdEPKdPdEvbiiT4_lT5_lllS6_lllT6_lmli: ; @_ZL34rocblas_ger_double_buffered_kernelILb0ELi64ELi16ELi2Ed24rocblas_internal_val_ptrIdEPKdPdEvbiiT4_lT5_lllS6_lllT6_lmli
; %bb.0:
	s_load_b32 s30, s[0:1], 0x80
	s_bfe_u32 s2, ttmp6, 0x40014
	s_lshr_b32 s3, ttmp7, 16
	s_add_co_i32 s2, s2, 1
	s_bfe_u32 s4, ttmp6, 0x40008
	s_mul_i32 s2, s3, s2
	s_getreg_b32 s31, hwreg(HW_REG_IB_STS2, 6, 4)
	s_add_co_i32 s4, s4, s2
	s_cmp_eq_u32 s31, 0
	s_cselect_b32 s2, s3, s4
	s_mov_b32 s3, 0
	s_wait_kmcnt 0x0
	s_cmp_ge_u32 s2, s30
	s_cbranch_scc1 .LBB7_7
; %bb.1:
	v_and_b32_e32 v2, 0x3ff, v0
	v_lshrrev_b32_e32 v1, 4, v0
	s_clause 0x4
	s_load_b128 s[24:27], s[0:1], 0x28
	s_load_b256 s[4:11], s[0:1], 0x58
	s_load_b256 s[12:19], s[0:1], 0x38
	s_load_b64 s[34:35], s[0:1], 0x20
	s_load_b32 s33, s[0:1], 0x0
	v_and_b32_e32 v10, 31, v0
	v_and_b32_e32 v3, 0xffc0, v1
	v_mov_b32_e32 v1, 0
	s_clause 0x1
	s_load_b128 s[20:23], s[0:1], 0x10
	s_load_b64 s[28:29], s[0:1], 0x78
	s_wait_xcnt 0x0
	s_mov_b32 s1, s3
	v_or_b32_e32 v4, 32, v10
	v_dual_mov_b32 v11, v1 :: v_dual_add_nc_u32 v2, v3, v2
	s_delay_alu instid0(VALU_DEP_1) | instskip(SKIP_1) | instid1(VALU_DEP_2)
	v_dual_mov_b32 v5, v1 :: v_dual_lshrrev_b32 v8, 4, v2
	s_wait_kmcnt 0x0
	v_mul_u64_e32 v[2:3], s[26:27], v[10:11]
	s_delay_alu instid0(VALU_DEP_2) | instskip(NEXT) | instid1(VALU_DEP_3)
	v_and_b32_e32 v0, 0x1ffe, v8
	v_mul_u64_e32 v[4:5], s[26:27], v[4:5]
	s_bitcmp1_b32 s33, 0
	v_lshlrev_b32_e32 v10, 3, v10
	s_cselect_b32 s0, -1, 0
	v_mul_u64_e32 v[12:13], s[10:11], v[0:1]
	v_mul_u64_e32 v[6:7], s[18:19], v[0:1]
	v_or_b32_e32 v0, 1, v8
	s_bfe_u32 s33, ttmp6, 0x4000c
	s_bfe_u32 s39, ttmp6, 0x40010
	s_and_b32 s38, ttmp7, 0xffff
	s_add_co_i32 s33, s33, 1
	v_mul_u64_e32 v[8:9], s[18:19], v[0:1]
	s_add_co_i32 s39, s39, 1
	s_lshl_b64 s[36:37], s[8:9], 3
	s_and_b32 s9, ttmp6, 15
	s_bfe_u32 s40, ttmp6, 0x40004
	s_xor_b32 s8, s0, -1
	s_mul_i32 s0, ttmp9, s33
	s_mul_i32 s33, s38, s39
	s_lshl_b64 s[24:25], s[24:25], 3
	s_lshl_b64 s[16:17], s[16:17], 3
	s_add_co_i32 s9, s9, s0
	s_add_co_i32 s40, s40, s33
	s_cmp_eq_u32 s31, 0
	s_add_nc_u64 s[6:7], s[6:7], s[36:37]
	s_cselect_b32 s0, ttmp9, s9
	s_cselect_b32 s9, s38, s40
	s_lshl_b32 s36, s0, 6
	s_lshl_b32 s0, s9, 6
	s_ashr_i32 s37, s36, 31
	s_mul_u64 s[38:39], s[10:11], s[0:1]
	s_lshl_b64 s[40:41], s[36:37], 3
	s_lshl_b64 s[38:39], s[38:39], 3
	s_add_nc_u64 s[6:7], s[6:7], s[40:41]
	s_mul_u64 s[0:1], s[18:19], s[0:1]
	s_add_nc_u64 s[6:7], s[6:7], s[38:39]
	s_add_nc_u64 s[14:15], s[14:15], s[16:17]
	v_lshl_add_u64 v[12:13], v[12:13], 3, s[6:7]
	s_add_nc_u64 s[6:7], s[34:35], s[24:25]
	s_mul_u64 s[24:25], s[26:27], s[36:37]
	s_lshl_b64 s[18:19], s[0:1], 3
	s_lshl_b64 s[16:17], s[24:25], 3
	v_add_nc_u64_e32 v[10:11], v[12:13], v[10:11]
	s_add_nc_u64 s[0:1], s[6:7], s[16:17]
	s_add_nc_u64 s[6:7], s[14:15], s[18:19]
	s_branch .LBB7_3
.LBB7_2:                                ;   in Loop: Header=BB7_3 Depth=1
	s_wait_xcnt 0x0
	s_or_b32 exec_lo, exec_lo, s9
	s_add_co_i32 s2, s2, 0x10000
	s_delay_alu instid0(SALU_CYCLE_1)
	s_cmp_lt_u32 s2, s30
	s_cbranch_scc0 .LBB7_7
.LBB7_3:                                ; =>This Inner Loop Header: Depth=1
	v_mov_b64_e32 v[12:13], s[20:21]
	s_and_not1_b32 vcc_lo, exec_lo, s8
	s_cbranch_vccnz .LBB7_5
; %bb.4:                                ;   in Loop: Header=BB7_3 Depth=1
	s_mul_u64 s[14:15], s[22:23], s[2:3]
	s_delay_alu instid0(SALU_CYCLE_1) | instskip(NEXT) | instid1(SALU_CYCLE_1)
	s_lshl_b64 s[14:15], s[14:15], 3
	s_add_nc_u64 s[14:15], s[20:21], s[14:15]
	flat_load_b64 v[12:13], v1, s[14:15]
.LBB7_5:                                ;   in Loop: Header=BB7_3 Depth=1
	s_mov_b32 s9, exec_lo
	s_wait_loadcnt_dscnt 0x0
	s_wait_xcnt 0x0
	s_delay_alu instid0(VALU_DEP_1)
	v_cmpx_neq_f64_e32 0, v[12:13]
	s_cbranch_execz .LBB7_2
; %bb.6:                                ;   in Loop: Header=BB7_3 Depth=1
	s_mul_u64 s[14:15], s[12:13], s[2:3]
	s_mul_u64 s[16:17], s[28:29], s[2:3]
	s_lshl_b64 s[14:15], s[14:15], 3
	s_delay_alu instid0(SALU_CYCLE_1) | instskip(NEXT) | instid1(SALU_CYCLE_1)
	s_add_nc_u64 s[14:15], s[0:1], s[14:15]
	v_lshl_add_u64 v[14:15], v[2:3], 3, s[14:15]
	v_lshl_add_u64 v[16:17], v[4:5], 3, s[14:15]
	s_mul_u64 s[14:15], s[4:5], s[2:3]
	s_clause 0x1
	global_load_b64 v[18:19], v[14:15], off
	global_load_b64 v[20:21], v[16:17], off
	s_lshl_b64 s[14:15], s[14:15], 3
	s_wait_xcnt 0x1
	v_lshl_add_u64 v[14:15], s[16:17], 3, v[10:11]
	s_add_nc_u64 s[14:15], s[6:7], s[14:15]
	s_wait_xcnt 0x0
	v_lshl_add_u64 v[16:17], v[6:7], 3, s[14:15]
	v_lshl_add_u64 v[22:23], v[8:9], 3, s[14:15]
	;; [unrolled: 1-line block ×3, first 2 shown]
	s_clause 0x1
	global_load_b64 v[26:27], v[16:17], off
	global_load_b64 v[28:29], v[22:23], off
	s_clause 0x3
	global_load_b64 v[30:31], v[14:15], off
	global_load_b64 v[32:33], v[24:25], off
	global_load_b64 v[34:35], v[24:25], off offset:256
	global_load_b64 v[36:37], v[14:15], off offset:256
	s_wait_loadcnt 0x7
	s_wait_xcnt 0x5
	v_mul_f64_e32 v[16:17], v[12:13], v[18:19]
	s_wait_loadcnt 0x6
	v_mul_f64_e32 v[12:13], v[12:13], v[20:21]
	s_wait_loadcnt 0x3
	s_delay_alu instid0(VALU_DEP_2) | instskip(SKIP_3) | instid1(VALU_DEP_3)
	v_fmac_f64_e32 v[30:31], v[16:17], v[26:27]
	s_wait_loadcnt 0x2
	v_fmac_f64_e32 v[32:33], v[16:17], v[28:29]
	s_wait_loadcnt 0x0
	v_fmac_f64_e32 v[36:37], v[12:13], v[26:27]
	v_fmac_f64_e32 v[34:35], v[12:13], v[28:29]
	s_clause 0x3
	global_store_b64 v[14:15], v[30:31], off
	global_store_b64 v[24:25], v[32:33], off
	global_store_b64 v[14:15], v[36:37], off offset:256
	global_store_b64 v[24:25], v[34:35], off offset:256
	s_branch .LBB7_2
.LBB7_7:
	s_endpgm
	.section	.rodata,"a",@progbits
	.p2align	6, 0x0
	.amdhsa_kernel _ZL34rocblas_ger_double_buffered_kernelILb0ELi64ELi16ELi2Ed24rocblas_internal_val_ptrIdEPKdPdEvbiiT4_lT5_lllS6_lllT6_lmli
		.amdhsa_group_segment_fixed_size 0
		.amdhsa_private_segment_fixed_size 0
		.amdhsa_kernarg_size 132
		.amdhsa_user_sgpr_count 2
		.amdhsa_user_sgpr_dispatch_ptr 0
		.amdhsa_user_sgpr_queue_ptr 0
		.amdhsa_user_sgpr_kernarg_segment_ptr 1
		.amdhsa_user_sgpr_dispatch_id 0
		.amdhsa_user_sgpr_kernarg_preload_length 0
		.amdhsa_user_sgpr_kernarg_preload_offset 0
		.amdhsa_user_sgpr_private_segment_size 0
		.amdhsa_wavefront_size32 1
		.amdhsa_uses_dynamic_stack 0
		.amdhsa_enable_private_segment 0
		.amdhsa_system_sgpr_workgroup_id_x 1
		.amdhsa_system_sgpr_workgroup_id_y 1
		.amdhsa_system_sgpr_workgroup_id_z 1
		.amdhsa_system_sgpr_workgroup_info 0
		.amdhsa_system_vgpr_workitem_id 1
		.amdhsa_next_free_vgpr 38
		.amdhsa_next_free_sgpr 42
		.amdhsa_named_barrier_count 0
		.amdhsa_reserve_vcc 1
		.amdhsa_float_round_mode_32 0
		.amdhsa_float_round_mode_16_64 0
		.amdhsa_float_denorm_mode_32 3
		.amdhsa_float_denorm_mode_16_64 3
		.amdhsa_fp16_overflow 0
		.amdhsa_memory_ordered 1
		.amdhsa_forward_progress 1
		.amdhsa_inst_pref_size 7
		.amdhsa_round_robin_scheduling 0
		.amdhsa_exception_fp_ieee_invalid_op 0
		.amdhsa_exception_fp_denorm_src 0
		.amdhsa_exception_fp_ieee_div_zero 0
		.amdhsa_exception_fp_ieee_overflow 0
		.amdhsa_exception_fp_ieee_underflow 0
		.amdhsa_exception_fp_ieee_inexact 0
		.amdhsa_exception_int_div_zero 0
	.end_amdhsa_kernel
	.section	.text._ZL34rocblas_ger_double_buffered_kernelILb0ELi64ELi16ELi2Ed24rocblas_internal_val_ptrIdEPKdPdEvbiiT4_lT5_lllS6_lllT6_lmli,"axG",@progbits,_ZL34rocblas_ger_double_buffered_kernelILb0ELi64ELi16ELi2Ed24rocblas_internal_val_ptrIdEPKdPdEvbiiT4_lT5_lllS6_lllT6_lmli,comdat
.Lfunc_end7:
	.size	_ZL34rocblas_ger_double_buffered_kernelILb0ELi64ELi16ELi2Ed24rocblas_internal_val_ptrIdEPKdPdEvbiiT4_lT5_lllS6_lllT6_lmli, .Lfunc_end7-_ZL34rocblas_ger_double_buffered_kernelILb0ELi64ELi16ELi2Ed24rocblas_internal_val_ptrIdEPKdPdEvbiiT4_lT5_lllS6_lllT6_lmli
                                        ; -- End function
	.set _ZL34rocblas_ger_double_buffered_kernelILb0ELi64ELi16ELi2Ed24rocblas_internal_val_ptrIdEPKdPdEvbiiT4_lT5_lllS6_lllT6_lmli.num_vgpr, 38
	.set _ZL34rocblas_ger_double_buffered_kernelILb0ELi64ELi16ELi2Ed24rocblas_internal_val_ptrIdEPKdPdEvbiiT4_lT5_lllS6_lllT6_lmli.num_agpr, 0
	.set _ZL34rocblas_ger_double_buffered_kernelILb0ELi64ELi16ELi2Ed24rocblas_internal_val_ptrIdEPKdPdEvbiiT4_lT5_lllS6_lllT6_lmli.numbered_sgpr, 42
	.set _ZL34rocblas_ger_double_buffered_kernelILb0ELi64ELi16ELi2Ed24rocblas_internal_val_ptrIdEPKdPdEvbiiT4_lT5_lllS6_lllT6_lmli.num_named_barrier, 0
	.set _ZL34rocblas_ger_double_buffered_kernelILb0ELi64ELi16ELi2Ed24rocblas_internal_val_ptrIdEPKdPdEvbiiT4_lT5_lllS6_lllT6_lmli.private_seg_size, 0
	.set _ZL34rocblas_ger_double_buffered_kernelILb0ELi64ELi16ELi2Ed24rocblas_internal_val_ptrIdEPKdPdEvbiiT4_lT5_lllS6_lllT6_lmli.uses_vcc, 1
	.set _ZL34rocblas_ger_double_buffered_kernelILb0ELi64ELi16ELi2Ed24rocblas_internal_val_ptrIdEPKdPdEvbiiT4_lT5_lllS6_lllT6_lmli.uses_flat_scratch, 0
	.set _ZL34rocblas_ger_double_buffered_kernelILb0ELi64ELi16ELi2Ed24rocblas_internal_val_ptrIdEPKdPdEvbiiT4_lT5_lllS6_lllT6_lmli.has_dyn_sized_stack, 0
	.set _ZL34rocblas_ger_double_buffered_kernelILb0ELi64ELi16ELi2Ed24rocblas_internal_val_ptrIdEPKdPdEvbiiT4_lT5_lllS6_lllT6_lmli.has_recursion, 0
	.set _ZL34rocblas_ger_double_buffered_kernelILb0ELi64ELi16ELi2Ed24rocblas_internal_val_ptrIdEPKdPdEvbiiT4_lT5_lllS6_lllT6_lmli.has_indirect_call, 0
	.section	.AMDGPU.csdata,"",@progbits
; Kernel info:
; codeLenInByte = 816
; TotalNumSgprs: 44
; NumVgprs: 38
; ScratchSize: 0
; MemoryBound: 0
; FloatMode: 240
; IeeeMode: 1
; LDSByteSize: 0 bytes/workgroup (compile time only)
; SGPRBlocks: 0
; VGPRBlocks: 2
; NumSGPRsForWavesPerEU: 44
; NumVGPRsForWavesPerEU: 38
; NamedBarCnt: 0
; Occupancy: 16
; WaveLimiterHint : 0
; COMPUTE_PGM_RSRC2:SCRATCH_EN: 0
; COMPUTE_PGM_RSRC2:USER_SGPR: 2
; COMPUTE_PGM_RSRC2:TRAP_HANDLER: 0
; COMPUTE_PGM_RSRC2:TGID_X_EN: 1
; COMPUTE_PGM_RSRC2:TGID_Y_EN: 1
; COMPUTE_PGM_RSRC2:TGID_Z_EN: 1
; COMPUTE_PGM_RSRC2:TIDIG_COMP_CNT: 1
	.section	.text._ZL26rocblas_sger_gfx942_kernelILi256EdPKdS1_PdEviiT1_lT2_lllS4_lllT3_lll,"axG",@progbits,_ZL26rocblas_sger_gfx942_kernelILi256EdPKdS1_PdEviiT1_lT2_lllS4_lllT3_lll,comdat
	.globl	_ZL26rocblas_sger_gfx942_kernelILi256EdPKdS1_PdEviiT1_lT2_lllS4_lllT3_lll ; -- Begin function _ZL26rocblas_sger_gfx942_kernelILi256EdPKdS1_PdEviiT1_lT2_lllS4_lllT3_lll
	.p2align	8
	.type	_ZL26rocblas_sger_gfx942_kernelILi256EdPKdS1_PdEviiT1_lT2_lllS4_lllT3_lll,@function
_ZL26rocblas_sger_gfx942_kernelILi256EdPKdS1_PdEviiT1_lT2_lllS4_lllT3_lll: ; @_ZL26rocblas_sger_gfx942_kernelILi256EdPKdS1_PdEviiT1_lT2_lllS4_lllT3_lll
; %bb.0:
	s_endpgm
	.section	.rodata,"a",@progbits
	.p2align	6, 0x0
	.amdhsa_kernel _ZL26rocblas_sger_gfx942_kernelILi256EdPKdS1_PdEviiT1_lT2_lllS4_lllT3_lll
		.amdhsa_group_segment_fixed_size 0
		.amdhsa_private_segment_fixed_size 0
		.amdhsa_kernarg_size 120
		.amdhsa_user_sgpr_count 2
		.amdhsa_user_sgpr_dispatch_ptr 0
		.amdhsa_user_sgpr_queue_ptr 0
		.amdhsa_user_sgpr_kernarg_segment_ptr 1
		.amdhsa_user_sgpr_dispatch_id 0
		.amdhsa_user_sgpr_kernarg_preload_length 0
		.amdhsa_user_sgpr_kernarg_preload_offset 0
		.amdhsa_user_sgpr_private_segment_size 0
		.amdhsa_wavefront_size32 1
		.amdhsa_uses_dynamic_stack 0
		.amdhsa_enable_private_segment 0
		.amdhsa_system_sgpr_workgroup_id_x 1
		.amdhsa_system_sgpr_workgroup_id_y 0
		.amdhsa_system_sgpr_workgroup_id_z 0
		.amdhsa_system_sgpr_workgroup_info 0
		.amdhsa_system_vgpr_workitem_id 0
		.amdhsa_next_free_vgpr 1
		.amdhsa_next_free_sgpr 1
		.amdhsa_named_barrier_count 0
		.amdhsa_reserve_vcc 0
		.amdhsa_float_round_mode_32 0
		.amdhsa_float_round_mode_16_64 0
		.amdhsa_float_denorm_mode_32 3
		.amdhsa_float_denorm_mode_16_64 3
		.amdhsa_fp16_overflow 0
		.amdhsa_memory_ordered 1
		.amdhsa_forward_progress 1
		.amdhsa_inst_pref_size 1
		.amdhsa_round_robin_scheduling 0
		.amdhsa_exception_fp_ieee_invalid_op 0
		.amdhsa_exception_fp_denorm_src 0
		.amdhsa_exception_fp_ieee_div_zero 0
		.amdhsa_exception_fp_ieee_overflow 0
		.amdhsa_exception_fp_ieee_underflow 0
		.amdhsa_exception_fp_ieee_inexact 0
		.amdhsa_exception_int_div_zero 0
	.end_amdhsa_kernel
	.section	.text._ZL26rocblas_sger_gfx942_kernelILi256EdPKdS1_PdEviiT1_lT2_lllS4_lllT3_lll,"axG",@progbits,_ZL26rocblas_sger_gfx942_kernelILi256EdPKdS1_PdEviiT1_lT2_lllS4_lllT3_lll,comdat
.Lfunc_end8:
	.size	_ZL26rocblas_sger_gfx942_kernelILi256EdPKdS1_PdEviiT1_lT2_lllS4_lllT3_lll, .Lfunc_end8-_ZL26rocblas_sger_gfx942_kernelILi256EdPKdS1_PdEviiT1_lT2_lllS4_lllT3_lll
                                        ; -- End function
	.set _ZL26rocblas_sger_gfx942_kernelILi256EdPKdS1_PdEviiT1_lT2_lllS4_lllT3_lll.num_vgpr, 0
	.set _ZL26rocblas_sger_gfx942_kernelILi256EdPKdS1_PdEviiT1_lT2_lllS4_lllT3_lll.num_agpr, 0
	.set _ZL26rocblas_sger_gfx942_kernelILi256EdPKdS1_PdEviiT1_lT2_lllS4_lllT3_lll.numbered_sgpr, 0
	.set _ZL26rocblas_sger_gfx942_kernelILi256EdPKdS1_PdEviiT1_lT2_lllS4_lllT3_lll.num_named_barrier, 0
	.set _ZL26rocblas_sger_gfx942_kernelILi256EdPKdS1_PdEviiT1_lT2_lllS4_lllT3_lll.private_seg_size, 0
	.set _ZL26rocblas_sger_gfx942_kernelILi256EdPKdS1_PdEviiT1_lT2_lllS4_lllT3_lll.uses_vcc, 0
	.set _ZL26rocblas_sger_gfx942_kernelILi256EdPKdS1_PdEviiT1_lT2_lllS4_lllT3_lll.uses_flat_scratch, 0
	.set _ZL26rocblas_sger_gfx942_kernelILi256EdPKdS1_PdEviiT1_lT2_lllS4_lllT3_lll.has_dyn_sized_stack, 0
	.set _ZL26rocblas_sger_gfx942_kernelILi256EdPKdS1_PdEviiT1_lT2_lllS4_lllT3_lll.has_recursion, 0
	.set _ZL26rocblas_sger_gfx942_kernelILi256EdPKdS1_PdEviiT1_lT2_lllS4_lllT3_lll.has_indirect_call, 0
	.section	.AMDGPU.csdata,"",@progbits
; Kernel info:
; codeLenInByte = 4
; TotalNumSgprs: 0
; NumVgprs: 0
; ScratchSize: 0
; MemoryBound: 0
; FloatMode: 240
; IeeeMode: 1
; LDSByteSize: 0 bytes/workgroup (compile time only)
; SGPRBlocks: 0
; VGPRBlocks: 0
; NumSGPRsForWavesPerEU: 1
; NumVGPRsForWavesPerEU: 1
; NamedBarCnt: 0
; Occupancy: 16
; WaveLimiterHint : 0
; COMPUTE_PGM_RSRC2:SCRATCH_EN: 0
; COMPUTE_PGM_RSRC2:USER_SGPR: 2
; COMPUTE_PGM_RSRC2:TRAP_HANDLER: 0
; COMPUTE_PGM_RSRC2:TGID_X_EN: 1
; COMPUTE_PGM_RSRC2:TGID_Y_EN: 0
; COMPUTE_PGM_RSRC2:TGID_Z_EN: 0
; COMPUTE_PGM_RSRC2:TIDIG_COMP_CNT: 0
	.section	.text._ZL26rocblas_sger_gfx942_kernelILi256EddPKdPdEviiT1_lT2_lllS4_lllT3_lll,"axG",@progbits,_ZL26rocblas_sger_gfx942_kernelILi256EddPKdPdEviiT1_lT2_lllS4_lllT3_lll,comdat
	.globl	_ZL26rocblas_sger_gfx942_kernelILi256EddPKdPdEviiT1_lT2_lllS4_lllT3_lll ; -- Begin function _ZL26rocblas_sger_gfx942_kernelILi256EddPKdPdEviiT1_lT2_lllS4_lllT3_lll
	.p2align	8
	.type	_ZL26rocblas_sger_gfx942_kernelILi256EddPKdPdEviiT1_lT2_lllS4_lllT3_lll,@function
_ZL26rocblas_sger_gfx942_kernelILi256EddPKdPdEviiT1_lT2_lllS4_lllT3_lll: ; @_ZL26rocblas_sger_gfx942_kernelILi256EddPKdPdEviiT1_lT2_lllS4_lllT3_lll
; %bb.0:
	s_endpgm
	.section	.rodata,"a",@progbits
	.p2align	6, 0x0
	.amdhsa_kernel _ZL26rocblas_sger_gfx942_kernelILi256EddPKdPdEviiT1_lT2_lllS4_lllT3_lll
		.amdhsa_group_segment_fixed_size 0
		.amdhsa_private_segment_fixed_size 0
		.amdhsa_kernarg_size 120
		.amdhsa_user_sgpr_count 2
		.amdhsa_user_sgpr_dispatch_ptr 0
		.amdhsa_user_sgpr_queue_ptr 0
		.amdhsa_user_sgpr_kernarg_segment_ptr 1
		.amdhsa_user_sgpr_dispatch_id 0
		.amdhsa_user_sgpr_kernarg_preload_length 0
		.amdhsa_user_sgpr_kernarg_preload_offset 0
		.amdhsa_user_sgpr_private_segment_size 0
		.amdhsa_wavefront_size32 1
		.amdhsa_uses_dynamic_stack 0
		.amdhsa_enable_private_segment 0
		.amdhsa_system_sgpr_workgroup_id_x 1
		.amdhsa_system_sgpr_workgroup_id_y 0
		.amdhsa_system_sgpr_workgroup_id_z 0
		.amdhsa_system_sgpr_workgroup_info 0
		.amdhsa_system_vgpr_workitem_id 0
		.amdhsa_next_free_vgpr 1
		.amdhsa_next_free_sgpr 1
		.amdhsa_named_barrier_count 0
		.amdhsa_reserve_vcc 0
		.amdhsa_float_round_mode_32 0
		.amdhsa_float_round_mode_16_64 0
		.amdhsa_float_denorm_mode_32 3
		.amdhsa_float_denorm_mode_16_64 3
		.amdhsa_fp16_overflow 0
		.amdhsa_memory_ordered 1
		.amdhsa_forward_progress 1
		.amdhsa_inst_pref_size 1
		.amdhsa_round_robin_scheduling 0
		.amdhsa_exception_fp_ieee_invalid_op 0
		.amdhsa_exception_fp_denorm_src 0
		.amdhsa_exception_fp_ieee_div_zero 0
		.amdhsa_exception_fp_ieee_overflow 0
		.amdhsa_exception_fp_ieee_underflow 0
		.amdhsa_exception_fp_ieee_inexact 0
		.amdhsa_exception_int_div_zero 0
	.end_amdhsa_kernel
	.section	.text._ZL26rocblas_sger_gfx942_kernelILi256EddPKdPdEviiT1_lT2_lllS4_lllT3_lll,"axG",@progbits,_ZL26rocblas_sger_gfx942_kernelILi256EddPKdPdEviiT1_lT2_lllS4_lllT3_lll,comdat
.Lfunc_end9:
	.size	_ZL26rocblas_sger_gfx942_kernelILi256EddPKdPdEviiT1_lT2_lllS4_lllT3_lll, .Lfunc_end9-_ZL26rocblas_sger_gfx942_kernelILi256EddPKdPdEviiT1_lT2_lllS4_lllT3_lll
                                        ; -- End function
	.set _ZL26rocblas_sger_gfx942_kernelILi256EddPKdPdEviiT1_lT2_lllS4_lllT3_lll.num_vgpr, 0
	.set _ZL26rocblas_sger_gfx942_kernelILi256EddPKdPdEviiT1_lT2_lllS4_lllT3_lll.num_agpr, 0
	.set _ZL26rocblas_sger_gfx942_kernelILi256EddPKdPdEviiT1_lT2_lllS4_lllT3_lll.numbered_sgpr, 0
	.set _ZL26rocblas_sger_gfx942_kernelILi256EddPKdPdEviiT1_lT2_lllS4_lllT3_lll.num_named_barrier, 0
	.set _ZL26rocblas_sger_gfx942_kernelILi256EddPKdPdEviiT1_lT2_lllS4_lllT3_lll.private_seg_size, 0
	.set _ZL26rocblas_sger_gfx942_kernelILi256EddPKdPdEviiT1_lT2_lllS4_lllT3_lll.uses_vcc, 0
	.set _ZL26rocblas_sger_gfx942_kernelILi256EddPKdPdEviiT1_lT2_lllS4_lllT3_lll.uses_flat_scratch, 0
	.set _ZL26rocblas_sger_gfx942_kernelILi256EddPKdPdEviiT1_lT2_lllS4_lllT3_lll.has_dyn_sized_stack, 0
	.set _ZL26rocblas_sger_gfx942_kernelILi256EddPKdPdEviiT1_lT2_lllS4_lllT3_lll.has_recursion, 0
	.set _ZL26rocblas_sger_gfx942_kernelILi256EddPKdPdEviiT1_lT2_lllS4_lllT3_lll.has_indirect_call, 0
	.section	.AMDGPU.csdata,"",@progbits
; Kernel info:
; codeLenInByte = 4
; TotalNumSgprs: 0
; NumVgprs: 0
; ScratchSize: 0
; MemoryBound: 0
; FloatMode: 240
; IeeeMode: 1
; LDSByteSize: 0 bytes/workgroup (compile time only)
; SGPRBlocks: 0
; VGPRBlocks: 0
; NumSGPRsForWavesPerEU: 1
; NumVGPRsForWavesPerEU: 1
; NamedBarCnt: 0
; Occupancy: 16
; WaveLimiterHint : 0
; COMPUTE_PGM_RSRC2:SCRATCH_EN: 0
; COMPUTE_PGM_RSRC2:USER_SGPR: 2
; COMPUTE_PGM_RSRC2:TRAP_HANDLER: 0
; COMPUTE_PGM_RSRC2:TGID_X_EN: 1
; COMPUTE_PGM_RSRC2:TGID_Y_EN: 0
; COMPUTE_PGM_RSRC2:TGID_Z_EN: 0
; COMPUTE_PGM_RSRC2:TIDIG_COMP_CNT: 0
	.section	.text._ZL19rocblas_sger_kernelILi1024EdPKdS1_PdEviiT1_lT2_lllS4_lllT3_lmli,"axG",@progbits,_ZL19rocblas_sger_kernelILi1024EdPKdS1_PdEviiT1_lT2_lllS4_lllT3_lmli,comdat
	.globl	_ZL19rocblas_sger_kernelILi1024EdPKdS1_PdEviiT1_lT2_lllS4_lllT3_lmli ; -- Begin function _ZL19rocblas_sger_kernelILi1024EdPKdS1_PdEviiT1_lT2_lllS4_lllT3_lmli
	.p2align	8
	.type	_ZL19rocblas_sger_kernelILi1024EdPKdS1_PdEviiT1_lT2_lllS4_lllT3_lmli,@function
_ZL19rocblas_sger_kernelILi1024EdPKdS1_PdEviiT1_lT2_lllS4_lllT3_lmli: ; @_ZL19rocblas_sger_kernelILi1024EdPKdS1_PdEviiT1_lT2_lllS4_lllT3_lmli
; %bb.0:
	s_load_b32 s28, s[0:1], 0x78
	s_bfe_u32 s2, ttmp6, 0x40014
	s_lshr_b32 s3, ttmp7, 16
	s_add_co_i32 s2, s2, 1
	s_bfe_u32 s4, ttmp6, 0x40008
	s_mul_i32 s2, s3, s2
	s_getreg_b32 s30, hwreg(HW_REG_IB_STS2, 6, 4)
	s_add_co_i32 s4, s4, s2
	s_cmp_eq_u32 s30, 0
	s_cselect_b32 s2, s3, s4
	s_mov_b32 s3, 0
	s_wait_kmcnt 0x0
	s_cmp_ge_u32 s2, s28
	s_cbranch_scc1 .LBB10_8
; %bb.1:
	s_clause 0x3
	s_load_b128 s[24:27], s[0:1], 0x20
	s_load_b256 s[12:19], s[0:1], 0x30
	s_load_b32 s29, s[0:1], 0x0
	s_load_b256 s[4:11], s[0:1], 0x50
	s_bfe_u32 s31, ttmp6, 0x4000c
	s_and_b32 s33, ttmp6, 15
	s_add_co_i32 s31, s31, 1
	s_clause 0x1
	s_load_b64 s[34:35], s[0:1], 0x18
	s_load_b128 s[20:23], s[0:1], 0x8
	s_mul_i32 s31, ttmp9, s31
	s_delay_alu instid0(SALU_CYCLE_1)
	s_add_co_i32 s33, s33, s31
	s_wait_kmcnt 0x0
	s_lshl_b64 s[16:17], s[16:17], 3
	s_cmp_eq_u32 s30, 0
	s_load_b64 s[30:31], s[0:1], 0x70
	s_wait_xcnt 0x0
	v_cmp_gt_i32_e64 s0, s29, v0
	v_mov_b32_e32 v1, 0
	s_cselect_b32 s36, ttmp9, s33
	s_lshl_b64 s[8:9], s[8:9], 3
	s_ashr_i32 s37, s36, 31
	v_cndmask_b32_e64 v2, 0, v0, s0
	v_mul_u64_e32 v[4:5], s[26:27], v[0:1]
	s_mul_u64 s[10:11], s[10:11], s[36:37]
	v_mov_b32_e32 v3, v1
	s_lshl_b64 s[10:11], s[10:11], 3
	v_lshlrev_b32_e32 v2, 3, v2
	s_add_nc_u64 s[8:9], s[10:11], s[8:9]
	s_lshl_b64 s[10:11], s[24:25], 3
	s_add_nc_u64 s[6:7], s[6:7], s[8:9]
	s_add_nc_u64 s[8:9], s[34:35], s[10:11]
	v_add_nc_u64_e32 v[2:3], s[6:7], v[2:3]
	s_add_nc_u64 s[14:15], s[14:15], s[16:17]
	s_mul_u64 s[16:17], s[18:19], s[36:37]
	s_lshl_b64 s[10:11], s[26:27], 13
	s_lshl_b64 s[16:17], s[16:17], 3
	s_delay_alu instid0(SALU_CYCLE_1) | instskip(NEXT) | instid1(VALU_DEP_4)
	s_add_nc_u64 s[6:7], s[14:15], s[16:17]
	v_lshl_add_u64 v[4:5], v[4:5], 3, s[8:9]
	s_lshl_b64 s[8:9], s[12:13], 3
	s_wait_kmcnt 0x0
	s_lshl_b64 s[12:13], s[30:31], 3
	s_branch .LBB10_4
.LBB10_2:                               ;   in Loop: Header=BB10_4 Depth=1
	s_or_b32 exec_lo, exec_lo, s1
.LBB10_3:                               ;   in Loop: Header=BB10_4 Depth=1
	s_add_co_i32 s2, s2, 0x10000
	s_delay_alu instid0(SALU_CYCLE_1)
	s_cmp_lt_u32 s2, s28
	s_cbranch_scc0 .LBB10_8
.LBB10_4:                               ; =>This Loop Header: Depth=1
                                        ;     Child Loop BB10_7 Depth 2
	s_wait_xcnt 0x0
	s_mul_u64 s[14:15], s[22:23], s[2:3]
	s_delay_alu instid0(SALU_CYCLE_1) | instskip(NEXT) | instid1(SALU_CYCLE_1)
	s_lshl_b64 s[14:15], s[14:15], 3
	s_add_nc_u64 s[14:15], s[20:21], s[14:15]
	s_load_b64 s[14:15], s[14:15], 0x0
	s_wait_kmcnt 0x0
	v_cmp_eq_f64_e64 s1, s[14:15], 0
	s_and_b32 vcc_lo, exec_lo, s1
	s_cbranch_vccnz .LBB10_3
; %bb.5:                                ;   in Loop: Header=BB10_4 Depth=1
	s_and_saveexec_b32 s1, s0
	s_cbranch_execz .LBB10_2
; %bb.6:                                ;   in Loop: Header=BB10_4 Depth=1
	s_mul_u64 s[16:17], s[4:5], s[2:3]
	v_mad_nc_u64_u32 v[8:9], s8, s2, v[4:5]
	s_lshl_b64 s[16:17], s[16:17], 3
	v_mad_nc_u64_u32 v[10:11], s12, s2, v[2:3]
	s_add_nc_u64 s[16:17], s[6:7], s[16:17]
	v_mov_b32_e32 v1, v0
	s_load_b64 s[16:17], s[16:17], 0x0
	s_delay_alu instid0(VALU_DEP_3) | instskip(NEXT) | instid1(VALU_DEP_3)
	v_mad_u32 v9, s9, s2, v9
	v_mad_u32 v11, s13, s2, v11
	s_wait_kmcnt 0x0
	v_mul_f64_e64 v[6:7], s[14:15], s[16:17]
	s_wait_xcnt 0x0
	s_mov_b32 s14, 0
.LBB10_7:                               ;   Parent Loop BB10_4 Depth=1
                                        ; =>  This Inner Loop Header: Depth=2
	global_load_b64 v[12:13], v[8:9], off
	global_load_b64 v[14:15], v[10:11], off
	v_add_nc_u32_e32 v1, 0x400, v1
	s_wait_xcnt 0x1
	v_add_nc_u64_e32 v[8:9], s[10:11], v[8:9]
	s_delay_alu instid0(VALU_DEP_2)
	v_cmp_le_i32_e32 vcc_lo, s29, v1
	s_or_b32 s14, vcc_lo, s14
	s_wait_loadcnt 0x0
	v_fmac_f64_e32 v[14:15], v[6:7], v[12:13]
	global_store_b64 v[10:11], v[14:15], off
	s_wait_xcnt 0x0
	v_add_nc_u64_e32 v[10:11], 0x2000, v[10:11]
	s_and_not1_b32 exec_lo, exec_lo, s14
	s_cbranch_execnz .LBB10_7
	s_branch .LBB10_2
.LBB10_8:
	s_endpgm
	.section	.rodata,"a",@progbits
	.p2align	6, 0x0
	.amdhsa_kernel _ZL19rocblas_sger_kernelILi1024EdPKdS1_PdEviiT1_lT2_lllS4_lllT3_lmli
		.amdhsa_group_segment_fixed_size 0
		.amdhsa_private_segment_fixed_size 0
		.amdhsa_kernarg_size 124
		.amdhsa_user_sgpr_count 2
		.amdhsa_user_sgpr_dispatch_ptr 0
		.amdhsa_user_sgpr_queue_ptr 0
		.amdhsa_user_sgpr_kernarg_segment_ptr 1
		.amdhsa_user_sgpr_dispatch_id 0
		.amdhsa_user_sgpr_kernarg_preload_length 0
		.amdhsa_user_sgpr_kernarg_preload_offset 0
		.amdhsa_user_sgpr_private_segment_size 0
		.amdhsa_wavefront_size32 1
		.amdhsa_uses_dynamic_stack 0
		.amdhsa_enable_private_segment 0
		.amdhsa_system_sgpr_workgroup_id_x 1
		.amdhsa_system_sgpr_workgroup_id_y 0
		.amdhsa_system_sgpr_workgroup_id_z 1
		.amdhsa_system_sgpr_workgroup_info 0
		.amdhsa_system_vgpr_workitem_id 0
		.amdhsa_next_free_vgpr 16
		.amdhsa_next_free_sgpr 38
		.amdhsa_named_barrier_count 0
		.amdhsa_reserve_vcc 1
		.amdhsa_float_round_mode_32 0
		.amdhsa_float_round_mode_16_64 0
		.amdhsa_float_denorm_mode_32 3
		.amdhsa_float_denorm_mode_16_64 3
		.amdhsa_fp16_overflow 0
		.amdhsa_memory_ordered 1
		.amdhsa_forward_progress 1
		.amdhsa_inst_pref_size 5
		.amdhsa_round_robin_scheduling 0
		.amdhsa_exception_fp_ieee_invalid_op 0
		.amdhsa_exception_fp_denorm_src 0
		.amdhsa_exception_fp_ieee_div_zero 0
		.amdhsa_exception_fp_ieee_overflow 0
		.amdhsa_exception_fp_ieee_underflow 0
		.amdhsa_exception_fp_ieee_inexact 0
		.amdhsa_exception_int_div_zero 0
	.end_amdhsa_kernel
	.section	.text._ZL19rocblas_sger_kernelILi1024EdPKdS1_PdEviiT1_lT2_lllS4_lllT3_lmli,"axG",@progbits,_ZL19rocblas_sger_kernelILi1024EdPKdS1_PdEviiT1_lT2_lllS4_lllT3_lmli,comdat
.Lfunc_end10:
	.size	_ZL19rocblas_sger_kernelILi1024EdPKdS1_PdEviiT1_lT2_lllS4_lllT3_lmli, .Lfunc_end10-_ZL19rocblas_sger_kernelILi1024EdPKdS1_PdEviiT1_lT2_lllS4_lllT3_lmli
                                        ; -- End function
	.set _ZL19rocblas_sger_kernelILi1024EdPKdS1_PdEviiT1_lT2_lllS4_lllT3_lmli.num_vgpr, 16
	.set _ZL19rocblas_sger_kernelILi1024EdPKdS1_PdEviiT1_lT2_lllS4_lllT3_lmli.num_agpr, 0
	.set _ZL19rocblas_sger_kernelILi1024EdPKdS1_PdEviiT1_lT2_lllS4_lllT3_lmli.numbered_sgpr, 38
	.set _ZL19rocblas_sger_kernelILi1024EdPKdS1_PdEviiT1_lT2_lllS4_lllT3_lmli.num_named_barrier, 0
	.set _ZL19rocblas_sger_kernelILi1024EdPKdS1_PdEviiT1_lT2_lllS4_lllT3_lmli.private_seg_size, 0
	.set _ZL19rocblas_sger_kernelILi1024EdPKdS1_PdEviiT1_lT2_lllS4_lllT3_lmli.uses_vcc, 1
	.set _ZL19rocblas_sger_kernelILi1024EdPKdS1_PdEviiT1_lT2_lllS4_lllT3_lmli.uses_flat_scratch, 0
	.set _ZL19rocblas_sger_kernelILi1024EdPKdS1_PdEviiT1_lT2_lllS4_lllT3_lmli.has_dyn_sized_stack, 0
	.set _ZL19rocblas_sger_kernelILi1024EdPKdS1_PdEviiT1_lT2_lllS4_lllT3_lmli.has_recursion, 0
	.set _ZL19rocblas_sger_kernelILi1024EdPKdS1_PdEviiT1_lT2_lllS4_lllT3_lmli.has_indirect_call, 0
	.section	.AMDGPU.csdata,"",@progbits
; Kernel info:
; codeLenInByte = 556
; TotalNumSgprs: 40
; NumVgprs: 16
; ScratchSize: 0
; MemoryBound: 0
; FloatMode: 240
; IeeeMode: 1
; LDSByteSize: 0 bytes/workgroup (compile time only)
; SGPRBlocks: 0
; VGPRBlocks: 0
; NumSGPRsForWavesPerEU: 40
; NumVGPRsForWavesPerEU: 16
; NamedBarCnt: 0
; Occupancy: 16
; WaveLimiterHint : 0
; COMPUTE_PGM_RSRC2:SCRATCH_EN: 0
; COMPUTE_PGM_RSRC2:USER_SGPR: 2
; COMPUTE_PGM_RSRC2:TRAP_HANDLER: 0
; COMPUTE_PGM_RSRC2:TGID_X_EN: 1
; COMPUTE_PGM_RSRC2:TGID_Y_EN: 0
; COMPUTE_PGM_RSRC2:TGID_Z_EN: 1
; COMPUTE_PGM_RSRC2:TIDIG_COMP_CNT: 0
	.section	.text._ZL19rocblas_sger_kernelILi1024EddPKdPdEviiT1_lT2_lllS4_lllT3_lmli,"axG",@progbits,_ZL19rocblas_sger_kernelILi1024EddPKdPdEviiT1_lT2_lllS4_lllT3_lmli,comdat
	.globl	_ZL19rocblas_sger_kernelILi1024EddPKdPdEviiT1_lT2_lllS4_lllT3_lmli ; -- Begin function _ZL19rocblas_sger_kernelILi1024EddPKdPdEviiT1_lT2_lllS4_lllT3_lmli
	.p2align	8
	.type	_ZL19rocblas_sger_kernelILi1024EddPKdPdEviiT1_lT2_lllS4_lllT3_lmli,@function
_ZL19rocblas_sger_kernelILi1024EddPKdPdEviiT1_lT2_lllS4_lllT3_lmli: ; @_ZL19rocblas_sger_kernelILi1024EddPKdPdEviiT1_lT2_lllS4_lllT3_lmli
; %bb.0:
	s_load_b32 s26, s[0:1], 0x78
	s_bfe_u32 s2, ttmp6, 0x40014
	s_lshr_b32 s3, ttmp7, 16
	s_add_co_i32 s2, s2, 1
	s_bfe_u32 s4, ttmp6, 0x40008
	s_mul_i32 s2, s3, s2
	s_getreg_b32 s28, hwreg(HW_REG_IB_STS2, 6, 4)
	s_add_co_i32 s4, s4, s2
	s_cmp_eq_u32 s28, 0
	s_cselect_b32 s2, s3, s4
	s_mov_b32 s3, 0
	s_wait_kmcnt 0x0
	s_cmp_ge_u32 s2, s26
	s_cbranch_scc1 .LBB11_8
; %bb.1:
	s_clause 0x4
	s_load_b128 s[20:23], s[0:1], 0x20
	s_load_b256 s[12:19], s[0:1], 0x30
	s_load_b32 s27, s[0:1], 0x0
	s_load_b64 s[30:31], s[0:1], 0x18
	s_load_b64 s[24:25], s[0:1], 0x8
	v_mov_b32_e32 v1, 0
	s_bfe_u32 s29, ttmp6, 0x4000c
	s_load_b256 s[4:11], s[0:1], 0x50
	s_add_co_i32 s29, s29, 1
	s_load_b64 s[34:35], s[0:1], 0x70
	s_wait_xcnt 0x0
	s_and_b32 s0, ttmp6, 15
	s_mul_i32 s1, ttmp9, s29
	s_delay_alu instid0(SALU_CYCLE_1)
	s_add_co_i32 s1, s0, s1
	s_wait_kmcnt 0x0
	v_mul_u64_e32 v[4:5], s[22:23], v[0:1]
	s_lshl_b64 s[16:17], s[16:17], 3
	s_cmp_eq_u32 s28, 0
	s_add_nc_u64 s[14:15], s[14:15], s[16:17]
	s_cselect_b32 s16, ttmp9, s1
	v_cmp_neq_f64_e64 s1, s[24:25], 0
	v_cmp_gt_i32_e64 s0, s27, v0
	v_mov_b32_e32 v3, v1
	s_ashr_i32 s17, s16, 31
	s_lshl_b64 s[8:9], s[8:9], 3
	s_mul_u64 s[10:11], s[10:11], s[16:17]
	v_cndmask_b32_e64 v1, 0, v0, s0
	s_lshl_b64 s[10:11], s[10:11], 3
	s_lshl_b64 s[20:21], s[20:21], 3
	s_add_nc_u64 s[8:9], s[10:11], s[8:9]
	s_add_nc_u64 s[20:21], s[30:31], s[20:21]
	v_lshlrev_b32_e32 v2, 3, v1
	s_add_nc_u64 s[8:9], s[6:7], s[8:9]
	s_mul_u64 s[16:17], s[18:19], s[16:17]
	s_delay_alu instid0(SALU_CYCLE_1) | instskip(NEXT) | instid1(VALU_DEP_1)
	s_lshl_b64 s[10:11], s[16:17], 3
	v_add_nc_u64_e32 v[2:3], s[8:9], v[2:3]
	s_add_nc_u64 s[6:7], s[14:15], s[10:11]
	s_lshl_b64 s[8:9], s[12:13], 3
	s_lshl_b64 s[10:11], s[22:23], 13
	;; [unrolled: 1-line block ×3, first 2 shown]
	v_lshl_add_u64 v[4:5], v[4:5], 3, s[20:21]
	s_branch .LBB11_4
.LBB11_2:                               ;   in Loop: Header=BB11_4 Depth=1
	s_or_b32 exec_lo, exec_lo, s14
.LBB11_3:                               ;   in Loop: Header=BB11_4 Depth=1
	s_add_co_i32 s2, s2, 0x10000
	s_delay_alu instid0(SALU_CYCLE_1)
	s_cmp_lt_u32 s2, s26
	s_cbranch_scc0 .LBB11_8
.LBB11_4:                               ; =>This Loop Header: Depth=1
                                        ;     Child Loop BB11_7 Depth 2
	s_and_not1_b32 vcc_lo, exec_lo, s1
	s_cbranch_vccnz .LBB11_3
; %bb.5:                                ;   in Loop: Header=BB11_4 Depth=1
	s_and_saveexec_b32 s14, s0
	s_cbranch_execz .LBB11_2
; %bb.6:                                ;   in Loop: Header=BB11_4 Depth=1
	s_mul_u64 s[16:17], s[4:5], s[2:3]
	v_mad_nc_u64_u32 v[8:9], s8, s2, v[4:5]
	s_lshl_b64 s[16:17], s[16:17], 3
	v_mad_nc_u64_u32 v[10:11], s12, s2, v[2:3]
	s_add_nc_u64 s[16:17], s[6:7], s[16:17]
	v_mov_b32_e32 v1, v0
	s_load_b64 s[16:17], s[16:17], 0x0
	s_mov_b32 s15, 0
	s_delay_alu instid0(VALU_DEP_3) | instskip(NEXT) | instid1(VALU_DEP_3)
	v_mad_u32 v9, s9, s2, v9
	v_mad_u32 v11, s13, s2, v11
	s_wait_kmcnt 0x0
	v_mul_f64_e64 v[6:7], s[24:25], s[16:17]
.LBB11_7:                               ;   Parent Loop BB11_4 Depth=1
                                        ; =>  This Inner Loop Header: Depth=2
	global_load_b64 v[12:13], v[8:9], off
	global_load_b64 v[14:15], v[10:11], off
	v_add_nc_u32_e32 v1, 0x400, v1
	s_wait_xcnt 0x1
	v_add_nc_u64_e32 v[8:9], s[10:11], v[8:9]
	s_delay_alu instid0(VALU_DEP_2)
	v_cmp_le_i32_e32 vcc_lo, s27, v1
	s_or_b32 s15, vcc_lo, s15
	s_wait_loadcnt 0x0
	v_fmac_f64_e32 v[14:15], v[6:7], v[12:13]
	global_store_b64 v[10:11], v[14:15], off
	s_wait_xcnt 0x0
	v_add_nc_u64_e32 v[10:11], 0x2000, v[10:11]
	s_and_not1_b32 exec_lo, exec_lo, s15
	s_cbranch_execnz .LBB11_7
	s_branch .LBB11_2
.LBB11_8:
	s_endpgm
	.section	.rodata,"a",@progbits
	.p2align	6, 0x0
	.amdhsa_kernel _ZL19rocblas_sger_kernelILi1024EddPKdPdEviiT1_lT2_lllS4_lllT3_lmli
		.amdhsa_group_segment_fixed_size 0
		.amdhsa_private_segment_fixed_size 0
		.amdhsa_kernarg_size 124
		.amdhsa_user_sgpr_count 2
		.amdhsa_user_sgpr_dispatch_ptr 0
		.amdhsa_user_sgpr_queue_ptr 0
		.amdhsa_user_sgpr_kernarg_segment_ptr 1
		.amdhsa_user_sgpr_dispatch_id 0
		.amdhsa_user_sgpr_kernarg_preload_length 0
		.amdhsa_user_sgpr_kernarg_preload_offset 0
		.amdhsa_user_sgpr_private_segment_size 0
		.amdhsa_wavefront_size32 1
		.amdhsa_uses_dynamic_stack 0
		.amdhsa_enable_private_segment 0
		.amdhsa_system_sgpr_workgroup_id_x 1
		.amdhsa_system_sgpr_workgroup_id_y 0
		.amdhsa_system_sgpr_workgroup_id_z 1
		.amdhsa_system_sgpr_workgroup_info 0
		.amdhsa_system_vgpr_workitem_id 0
		.amdhsa_next_free_vgpr 16
		.amdhsa_next_free_sgpr 36
		.amdhsa_named_barrier_count 0
		.amdhsa_reserve_vcc 1
		.amdhsa_float_round_mode_32 0
		.amdhsa_float_round_mode_16_64 0
		.amdhsa_float_denorm_mode_32 3
		.amdhsa_float_denorm_mode_16_64 3
		.amdhsa_fp16_overflow 0
		.amdhsa_memory_ordered 1
		.amdhsa_forward_progress 1
		.amdhsa_inst_pref_size 4
		.amdhsa_round_robin_scheduling 0
		.amdhsa_exception_fp_ieee_invalid_op 0
		.amdhsa_exception_fp_denorm_src 0
		.amdhsa_exception_fp_ieee_div_zero 0
		.amdhsa_exception_fp_ieee_overflow 0
		.amdhsa_exception_fp_ieee_underflow 0
		.amdhsa_exception_fp_ieee_inexact 0
		.amdhsa_exception_int_div_zero 0
	.end_amdhsa_kernel
	.section	.text._ZL19rocblas_sger_kernelILi1024EddPKdPdEviiT1_lT2_lllS4_lllT3_lmli,"axG",@progbits,_ZL19rocblas_sger_kernelILi1024EddPKdPdEviiT1_lT2_lllS4_lllT3_lmli,comdat
.Lfunc_end11:
	.size	_ZL19rocblas_sger_kernelILi1024EddPKdPdEviiT1_lT2_lllS4_lllT3_lmli, .Lfunc_end11-_ZL19rocblas_sger_kernelILi1024EddPKdPdEviiT1_lT2_lllS4_lllT3_lmli
                                        ; -- End function
	.set _ZL19rocblas_sger_kernelILi1024EddPKdPdEviiT1_lT2_lllS4_lllT3_lmli.num_vgpr, 16
	.set _ZL19rocblas_sger_kernelILi1024EddPKdPdEviiT1_lT2_lllS4_lllT3_lmli.num_agpr, 0
	.set _ZL19rocblas_sger_kernelILi1024EddPKdPdEviiT1_lT2_lllS4_lllT3_lmli.numbered_sgpr, 36
	.set _ZL19rocblas_sger_kernelILi1024EddPKdPdEviiT1_lT2_lllS4_lllT3_lmli.num_named_barrier, 0
	.set _ZL19rocblas_sger_kernelILi1024EddPKdPdEviiT1_lT2_lllS4_lllT3_lmli.private_seg_size, 0
	.set _ZL19rocblas_sger_kernelILi1024EddPKdPdEviiT1_lT2_lllS4_lllT3_lmli.uses_vcc, 1
	.set _ZL19rocblas_sger_kernelILi1024EddPKdPdEviiT1_lT2_lllS4_lllT3_lmli.uses_flat_scratch, 0
	.set _ZL19rocblas_sger_kernelILi1024EddPKdPdEviiT1_lT2_lllS4_lllT3_lmli.has_dyn_sized_stack, 0
	.set _ZL19rocblas_sger_kernelILi1024EddPKdPdEviiT1_lT2_lllS4_lllT3_lmli.has_recursion, 0
	.set _ZL19rocblas_sger_kernelILi1024EddPKdPdEviiT1_lT2_lllS4_lllT3_lmli.has_indirect_call, 0
	.section	.AMDGPU.csdata,"",@progbits
; Kernel info:
; codeLenInByte = 512
; TotalNumSgprs: 38
; NumVgprs: 16
; ScratchSize: 0
; MemoryBound: 0
; FloatMode: 240
; IeeeMode: 1
; LDSByteSize: 0 bytes/workgroup (compile time only)
; SGPRBlocks: 0
; VGPRBlocks: 0
; NumSGPRsForWavesPerEU: 38
; NumVGPRsForWavesPerEU: 16
; NamedBarCnt: 0
; Occupancy: 16
; WaveLimiterHint : 0
; COMPUTE_PGM_RSRC2:SCRATCH_EN: 0
; COMPUTE_PGM_RSRC2:USER_SGPR: 2
; COMPUTE_PGM_RSRC2:TRAP_HANDLER: 0
; COMPUTE_PGM_RSRC2:TGID_X_EN: 1
; COMPUTE_PGM_RSRC2:TGID_Y_EN: 0
; COMPUTE_PGM_RSRC2:TGID_Z_EN: 1
; COMPUTE_PGM_RSRC2:TIDIG_COMP_CNT: 0
	.section	.text._ZL18rocblas_ger_kernelILi32ELi32ELi2ELb0EdPKdS1_PdEviiT4_lT5_lllS4_lllT6_lmli,"axG",@progbits,_ZL18rocblas_ger_kernelILi32ELi32ELi2ELb0EdPKdS1_PdEviiT4_lT5_lllS4_lllT6_lmli,comdat
	.globl	_ZL18rocblas_ger_kernelILi32ELi32ELi2ELb0EdPKdS1_PdEviiT4_lT5_lllS4_lllT6_lmli ; -- Begin function _ZL18rocblas_ger_kernelILi32ELi32ELi2ELb0EdPKdS1_PdEviiT4_lT5_lllS4_lllT6_lmli
	.p2align	8
	.type	_ZL18rocblas_ger_kernelILi32ELi32ELi2ELb0EdPKdS1_PdEviiT4_lT5_lllS4_lllT6_lmli,@function
_ZL18rocblas_ger_kernelILi32ELi32ELi2ELb0EdPKdS1_PdEviiT4_lT5_lllS4_lllT6_lmli: ; @_ZL18rocblas_ger_kernelILi32ELi32ELi2ELb0EdPKdS1_PdEviiT4_lT5_lllS4_lllT6_lmli
; %bb.0:
	s_load_b32 s33, s[0:1], 0x78
	s_bfe_u32 s2, ttmp6, 0x40014
	s_lshr_b32 s3, ttmp7, 16
	s_add_co_i32 s2, s2, 1
	s_bfe_u32 s5, ttmp6, 0x40008
	s_mul_i32 s4, s3, s2
	s_getreg_b32 s2, hwreg(HW_REG_IB_STS2, 6, 4)
	s_add_co_i32 s5, s5, s4
	s_cmp_eq_u32 s2, 0
	s_mov_b32 s29, 0
	s_cselect_b32 s28, s3, s5
	s_wait_kmcnt 0x0
	s_cmp_ge_u32 s28, s33
	s_cbranch_scc1 .LBB12_18
; %bb.1:
	s_clause 0x1
	s_load_b64 s[30:31], s[0:1], 0x0
	s_load_b128 s[24:27], s[0:1], 0x8
	s_bfe_u32 s6, ttmp6, 0x4000c
	s_and_b32 s5, ttmp6, 15
	s_add_co_i32 s6, s6, 1
	s_load_b256 s[16:23], s[0:1], 0x30
	s_mul_i32 s6, ttmp9, s6
	v_bfe_u32 v17, v0, 10, 10
	s_add_co_i32 s5, s5, s6
	s_load_b256 s[8:15], s[0:1], 0x50
	v_and_b32_e32 v18, 0x3ff, v0
	s_delay_alu instid0(VALU_DEP_2) | instskip(SKIP_2) | instid1(SALU_CYCLE_1)
	v_lshlrev_b32_e32 v16, 4, v17
	s_wait_kmcnt 0x0
	s_add_co_i32 s3, s30, -1
	s_ashr_i32 s4, s3, 31
	s_delay_alu instid0(SALU_CYCLE_1) | instskip(NEXT) | instid1(SALU_CYCLE_1)
	s_lshr_b32 s4, s4, 27
	s_add_co_i32 s3, s3, s4
	s_delay_alu instid0(SALU_CYCLE_1) | instskip(NEXT) | instid1(SALU_CYCLE_1)
	s_ashr_i32 s3, s3, 5
	s_add_co_i32 s34, s3, 1
	s_not_b32 s3, s3
	s_cvt_f32_u32 s4, s34
	s_delay_alu instid0(SALU_CYCLE_3) | instskip(SKIP_1) | instid1(TRANS32_DEP_1)
	v_rcp_iflag_f32_e32 v1, s4
	v_nop
	v_readfirstlane_b32 s4, v1
	v_lshlrev_b32_e32 v1, 1, v17
	s_mul_f32 s4, s4, 0x4f7ffffe
	s_delay_alu instid0(SALU_CYCLE_3) | instskip(NEXT) | instid1(SALU_CYCLE_3)
	s_cvt_u32_f32 s4, s4
	s_mul_i32 s3, s3, s4
	s_delay_alu instid0(SALU_CYCLE_1) | instskip(NEXT) | instid1(SALU_CYCLE_1)
	s_mul_hi_u32 s3, s4, s3
	s_add_co_i32 s4, s4, s3
	s_cmp_eq_u32 s2, 0
	s_cselect_b32 s2, ttmp9, s5
	s_delay_alu instid0(SALU_CYCLE_1) | instskip(SKIP_4) | instid1(SALU_CYCLE_1)
	s_mul_hi_u32 s3, s2, s4
	s_load_b128 s[4:7], s[0:1], 0x20
	s_mul_i32 s35, s3, s34
	s_add_co_i32 s36, s3, 1
	s_sub_co_i32 s35, s2, s35
	s_sub_co_i32 s37, s35, s34
	s_cmp_ge_u32 s35, s34
	s_cselect_b32 s3, s36, s3
	s_cselect_b32 s35, s37, s35
	s_add_co_i32 s36, s3, 1
	s_cmp_ge_u32 s35, s34
	s_cselect_b32 s3, s36, s3
	s_lshl_b64 s[12:13], s[12:13], 3
	s_mul_i32 s34, s3, s34
	v_lshl_add_u32 v6, s3, 6, v1
	s_sub_co_i32 s2, s2, s34
	s_add_nc_u64 s[10:11], s[10:11], s[12:13]
	v_lshl_add_u32 v8, s2, 5, v18
	s_delay_alu instid0(VALU_DEP_2) | instskip(SKIP_1) | instid1(VALU_DEP_3)
	v_dual_mov_b32 v1, 0 :: v_dual_bitop2_b32 v0, v6, v18 bitop3:0x54
	v_dual_ashrrev_i32 v7, 31, v6 :: v_dual_bitop2_b32 v12, 1, v6 bitop3:0x54
	v_ashrrev_i32_e32 v9, 31, v8
	s_load_b64 s[2:3], s[0:1], 0x18
	s_delay_alu instid0(VALU_DEP_3) | instskip(NEXT) | instid1(VALU_DEP_3)
	v_mul_u64_e32 v[10:11], s[22:23], v[0:1]
	v_ashrrev_i32_e32 v13, 31, v12
	v_mul_u64_e32 v[2:3], s[14:15], v[6:7]
	s_wait_kmcnt 0x0
	v_mul_u64_e32 v[14:15], s[6:7], v[8:9]
	v_lshlrev_b32_e32 v7, 3, v18
	s_load_b64 s[6:7], s[0:1], 0x70
	v_mul_u64_e32 v[4:5], s[14:15], v[12:13]
	s_lshl_b64 s[14:15], s[20:21], 3
	s_lshl_b64 s[4:5], s[4:5], 3
	s_add_nc_u64 s[12:13], s[18:19], s[14:15]
	s_wait_xcnt 0x0
	v_cmp_eq_u32_e64 s0, 0, v17
	v_cmp_gt_u32_e64 s1, 2, v18
	v_add_nc_u32_e32 v17, 0x200, v7
	v_add_nc_u32_e32 v18, v16, v7
	s_add_nc_u64 s[14:15], s[2:3], s[4:5]
	v_cmp_gt_i32_e64 s2, s31, v6
	v_cmp_gt_i32_e64 s3, s30, v8
	v_cmp_gt_u32_e64 s4, s31, v0
	v_lshl_add_u64 v[6:7], v[8:9], 3, s[10:11]
	v_cmp_gt_i32_e64 s5, s31, v12
	v_lshl_add_u64 v[8:9], v[10:11], 3, s[12:13]
	v_lshl_add_u64 v[10:11], v[14:15], 3, s[14:15]
	s_branch .LBB12_4
.LBB12_2:                               ;   in Loop: Header=BB12_4 Depth=1
	s_wait_xcnt 0x0
	s_or_b32 exec_lo, exec_lo, s10
.LBB12_3:                               ;   in Loop: Header=BB12_4 Depth=1
	s_add_co_i32 s28, s28, 0x10000
	s_delay_alu instid0(SALU_CYCLE_1)
	s_cmp_lt_u32 s28, s33
	s_cbranch_scc0 .LBB12_18
.LBB12_4:                               ; =>This Inner Loop Header: Depth=1
	s_wait_xcnt 0x0
	s_mul_u64 s[10:11], s[26:27], s[28:29]
	s_delay_alu instid0(SALU_CYCLE_1) | instskip(NEXT) | instid1(SALU_CYCLE_1)
	s_lshl_b64 s[10:11], s[10:11], 3
	s_add_nc_u64 s[10:11], s[24:25], s[10:11]
	global_load_b64 v[12:13], v1, s[10:11]
	s_wait_loadcnt 0x0
	v_cmp_eq_f64_e32 vcc_lo, 0, v[12:13]
	s_cbranch_vccnz .LBB12_3
; %bb.5:                                ;   in Loop: Header=BB12_4 Depth=1
	s_wait_xcnt 0x0
	s_and_saveexec_b32 s10, s0
	s_cbranch_execz .LBB12_9
; %bb.6:                                ;   in Loop: Header=BB12_4 Depth=1
	v_mov_b64_e32 v[14:15], 0
	s_and_saveexec_b32 s11, s3
	s_cbranch_execz .LBB12_8
; %bb.7:                                ;   in Loop: Header=BB12_4 Depth=1
	s_mul_u64 s[12:13], s[16:17], s[28:29]
	s_delay_alu instid0(SALU_CYCLE_1)
	v_lshl_add_u64 v[14:15], s[12:13], 3, v[10:11]
	global_load_b64 v[14:15], v[14:15], off
.LBB12_8:                               ;   in Loop: Header=BB12_4 Depth=1
	s_wait_xcnt 0x0
	s_or_b32 exec_lo, exec_lo, s11
	s_wait_loadcnt 0x0
	ds_store_b64 v17, v[14:15]
.LBB12_9:                               ;   in Loop: Header=BB12_4 Depth=1
	s_or_b32 exec_lo, exec_lo, s10
	s_and_saveexec_b32 s10, s1
	s_cbranch_execz .LBB12_13
; %bb.10:                               ;   in Loop: Header=BB12_4 Depth=1
	v_mov_b64_e32 v[14:15], 0
	s_and_saveexec_b32 s11, s4
	s_cbranch_execz .LBB12_12
; %bb.11:                               ;   in Loop: Header=BB12_4 Depth=1
	s_mul_u64 s[12:13], s[8:9], s[28:29]
	s_delay_alu instid0(SALU_CYCLE_1)
	v_lshl_add_u64 v[14:15], s[12:13], 3, v[8:9]
	global_load_b64 v[14:15], v[14:15], off
.LBB12_12:                              ;   in Loop: Header=BB12_4 Depth=1
	s_wait_xcnt 0x0
	s_or_b32 exec_lo, exec_lo, s11
	s_wait_loadcnt 0x0
	ds_store_b64 v18, v[14:15]
.LBB12_13:                              ;   in Loop: Header=BB12_4 Depth=1
	s_or_b32 exec_lo, exec_lo, s10
	s_wait_dscnt 0x0
	s_barrier_signal -1
	s_barrier_wait -1
	s_and_saveexec_b32 s10, s3
	s_cbranch_execz .LBB12_2
; %bb.14:                               ;   in Loop: Header=BB12_4 Depth=1
	ds_load_b64 v[14:15], v17
	s_wait_kmcnt 0x0
	s_mul_u64 s[12:13], s[6:7], s[28:29]
	s_wait_dscnt 0x0
	v_mul_f64_e32 v[12:13], v[12:13], v[14:15]
	v_lshl_add_u64 v[14:15], s[12:13], 3, v[6:7]
	s_and_saveexec_b32 s11, s2
	s_cbranch_execz .LBB12_16
; %bb.15:                               ;   in Loop: Header=BB12_4 Depth=1
	s_delay_alu instid0(VALU_DEP_1)
	v_lshl_add_u64 v[20:21], v[2:3], 3, v[14:15]
	ds_load_b64 v[24:25], v16
	global_load_b64 v[22:23], v[20:21], off
	s_wait_loadcnt_dscnt 0x0
	v_fmac_f64_e32 v[22:23], v[12:13], v[24:25]
	global_store_b64 v[20:21], v[22:23], off
.LBB12_16:                              ;   in Loop: Header=BB12_4 Depth=1
	s_wait_xcnt 0x0
	s_or_b32 exec_lo, exec_lo, s11
	s_delay_alu instid0(SALU_CYCLE_1)
	s_and_b32 exec_lo, exec_lo, s5
	s_cbranch_execz .LBB12_2
; %bb.17:                               ;   in Loop: Header=BB12_4 Depth=1
	v_lshl_add_u64 v[14:15], v[4:5], 3, v[14:15]
	ds_load_b64 v[22:23], v16 offset:8
	global_load_b64 v[20:21], v[14:15], off
	s_wait_loadcnt_dscnt 0x0
	v_fmac_f64_e32 v[20:21], v[12:13], v[22:23]
	global_store_b64 v[14:15], v[20:21], off
	s_branch .LBB12_2
.LBB12_18:
	s_endpgm
	.section	.rodata,"a",@progbits
	.p2align	6, 0x0
	.amdhsa_kernel _ZL18rocblas_ger_kernelILi32ELi32ELi2ELb0EdPKdS1_PdEviiT4_lT5_lllS4_lllT6_lmli
		.amdhsa_group_segment_fixed_size 768
		.amdhsa_private_segment_fixed_size 0
		.amdhsa_kernarg_size 124
		.amdhsa_user_sgpr_count 2
		.amdhsa_user_sgpr_dispatch_ptr 0
		.amdhsa_user_sgpr_queue_ptr 0
		.amdhsa_user_sgpr_kernarg_segment_ptr 1
		.amdhsa_user_sgpr_dispatch_id 0
		.amdhsa_user_sgpr_kernarg_preload_length 0
		.amdhsa_user_sgpr_kernarg_preload_offset 0
		.amdhsa_user_sgpr_private_segment_size 0
		.amdhsa_wavefront_size32 1
		.amdhsa_uses_dynamic_stack 0
		.amdhsa_enable_private_segment 0
		.amdhsa_system_sgpr_workgroup_id_x 1
		.amdhsa_system_sgpr_workgroup_id_y 0
		.amdhsa_system_sgpr_workgroup_id_z 1
		.amdhsa_system_sgpr_workgroup_info 0
		.amdhsa_system_vgpr_workitem_id 1
		.amdhsa_next_free_vgpr 26
		.amdhsa_next_free_sgpr 38
		.amdhsa_named_barrier_count 0
		.amdhsa_reserve_vcc 1
		.amdhsa_float_round_mode_32 0
		.amdhsa_float_round_mode_16_64 0
		.amdhsa_float_denorm_mode_32 3
		.amdhsa_float_denorm_mode_16_64 3
		.amdhsa_fp16_overflow 0
		.amdhsa_memory_ordered 1
		.amdhsa_forward_progress 1
		.amdhsa_inst_pref_size 8
		.amdhsa_round_robin_scheduling 0
		.amdhsa_exception_fp_ieee_invalid_op 0
		.amdhsa_exception_fp_denorm_src 0
		.amdhsa_exception_fp_ieee_div_zero 0
		.amdhsa_exception_fp_ieee_overflow 0
		.amdhsa_exception_fp_ieee_underflow 0
		.amdhsa_exception_fp_ieee_inexact 0
		.amdhsa_exception_int_div_zero 0
	.end_amdhsa_kernel
	.section	.text._ZL18rocblas_ger_kernelILi32ELi32ELi2ELb0EdPKdS1_PdEviiT4_lT5_lllS4_lllT6_lmli,"axG",@progbits,_ZL18rocblas_ger_kernelILi32ELi32ELi2ELb0EdPKdS1_PdEviiT4_lT5_lllS4_lllT6_lmli,comdat
.Lfunc_end12:
	.size	_ZL18rocblas_ger_kernelILi32ELi32ELi2ELb0EdPKdS1_PdEviiT4_lT5_lllS4_lllT6_lmli, .Lfunc_end12-_ZL18rocblas_ger_kernelILi32ELi32ELi2ELb0EdPKdS1_PdEviiT4_lT5_lllS4_lllT6_lmli
                                        ; -- End function
	.set _ZL18rocblas_ger_kernelILi32ELi32ELi2ELb0EdPKdS1_PdEviiT4_lT5_lllS4_lllT6_lmli.num_vgpr, 26
	.set _ZL18rocblas_ger_kernelILi32ELi32ELi2ELb0EdPKdS1_PdEviiT4_lT5_lllS4_lllT6_lmli.num_agpr, 0
	.set _ZL18rocblas_ger_kernelILi32ELi32ELi2ELb0EdPKdS1_PdEviiT4_lT5_lllS4_lllT6_lmli.numbered_sgpr, 38
	.set _ZL18rocblas_ger_kernelILi32ELi32ELi2ELb0EdPKdS1_PdEviiT4_lT5_lllS4_lllT6_lmli.num_named_barrier, 0
	.set _ZL18rocblas_ger_kernelILi32ELi32ELi2ELb0EdPKdS1_PdEviiT4_lT5_lllS4_lllT6_lmli.private_seg_size, 0
	.set _ZL18rocblas_ger_kernelILi32ELi32ELi2ELb0EdPKdS1_PdEviiT4_lT5_lllS4_lllT6_lmli.uses_vcc, 1
	.set _ZL18rocblas_ger_kernelILi32ELi32ELi2ELb0EdPKdS1_PdEviiT4_lT5_lllS4_lllT6_lmli.uses_flat_scratch, 0
	.set _ZL18rocblas_ger_kernelILi32ELi32ELi2ELb0EdPKdS1_PdEviiT4_lT5_lllS4_lllT6_lmli.has_dyn_sized_stack, 0
	.set _ZL18rocblas_ger_kernelILi32ELi32ELi2ELb0EdPKdS1_PdEviiT4_lT5_lllS4_lllT6_lmli.has_recursion, 0
	.set _ZL18rocblas_ger_kernelILi32ELi32ELi2ELb0EdPKdS1_PdEviiT4_lT5_lllS4_lllT6_lmli.has_indirect_call, 0
	.section	.AMDGPU.csdata,"",@progbits
; Kernel info:
; codeLenInByte = 940
; TotalNumSgprs: 40
; NumVgprs: 26
; ScratchSize: 0
; MemoryBound: 0
; FloatMode: 240
; IeeeMode: 1
; LDSByteSize: 768 bytes/workgroup (compile time only)
; SGPRBlocks: 0
; VGPRBlocks: 1
; NumSGPRsForWavesPerEU: 40
; NumVGPRsForWavesPerEU: 26
; NamedBarCnt: 0
; Occupancy: 16
; WaveLimiterHint : 0
; COMPUTE_PGM_RSRC2:SCRATCH_EN: 0
; COMPUTE_PGM_RSRC2:USER_SGPR: 2
; COMPUTE_PGM_RSRC2:TRAP_HANDLER: 0
; COMPUTE_PGM_RSRC2:TGID_X_EN: 1
; COMPUTE_PGM_RSRC2:TGID_Y_EN: 0
; COMPUTE_PGM_RSRC2:TGID_Z_EN: 1
; COMPUTE_PGM_RSRC2:TIDIG_COMP_CNT: 1
	.section	.text._ZL18rocblas_ger_kernelILi32ELi32ELi2ELb0EddPKdPdEviiT4_lT5_lllS4_lllT6_lmli,"axG",@progbits,_ZL18rocblas_ger_kernelILi32ELi32ELi2ELb0EddPKdPdEviiT4_lT5_lllS4_lllT6_lmli,comdat
	.globl	_ZL18rocblas_ger_kernelILi32ELi32ELi2ELb0EddPKdPdEviiT4_lT5_lllS4_lllT6_lmli ; -- Begin function _ZL18rocblas_ger_kernelILi32ELi32ELi2ELb0EddPKdPdEviiT4_lT5_lllS4_lllT6_lmli
	.p2align	8
	.type	_ZL18rocblas_ger_kernelILi32ELi32ELi2ELb0EddPKdPdEviiT4_lT5_lllS4_lllT6_lmli,@function
_ZL18rocblas_ger_kernelILi32ELi32ELi2ELb0EddPKdPdEviiT4_lT5_lllS4_lllT6_lmli: ; @_ZL18rocblas_ger_kernelILi32ELi32ELi2ELb0EddPKdPdEviiT4_lT5_lllS4_lllT6_lmli
; %bb.0:
	s_load_b32 s30, s[0:1], 0x78
	s_bfe_u32 s2, ttmp6, 0x40014
	s_lshr_b32 s3, ttmp7, 16
	s_add_co_i32 s2, s2, 1
	s_bfe_u32 s5, ttmp6, 0x40008
	s_mul_i32 s4, s3, s2
	s_getreg_b32 s2, hwreg(HW_REG_IB_STS2, 6, 4)
	s_add_co_i32 s5, s5, s4
	s_cmp_eq_u32 s2, 0
	s_mov_b32 s29, 0
	s_cselect_b32 s28, s3, s5
	s_wait_kmcnt 0x0
	s_cmp_ge_u32 s28, s30
	s_cbranch_scc1 .LBB13_18
; %bb.1:
	s_clause 0x1
	s_load_b128 s[4:7], s[0:1], 0x0
	s_load_b128 s[24:27], s[0:1], 0x20
	s_bfe_u32 s10, ttmp6, 0x4000c
	s_and_b32 s9, ttmp6, 15
	s_add_co_i32 s10, s10, 1
	v_bfe_u32 v15, v0, 10, 10
	s_mul_i32 s10, ttmp9, s10
	s_load_b256 s[16:23], s[0:1], 0x30
	s_add_co_i32 s9, s9, s10
	v_and_b32_e32 v16, 0x3ff, v0
	v_dual_mov_b32 v9, 0 :: v_dual_lshlrev_b32 v14, 4, v15
	s_wait_kmcnt 0x0
	s_add_co_i32 s3, s4, -1
	s_delay_alu instid0(SALU_CYCLE_1) | instskip(NEXT) | instid1(SALU_CYCLE_1)
	s_ashr_i32 s8, s3, 31
	s_lshr_b32 s8, s8, 27
	s_delay_alu instid0(SALU_CYCLE_1) | instskip(NEXT) | instid1(SALU_CYCLE_1)
	s_add_co_i32 s3, s3, s8
	s_ashr_i32 s3, s3, 5
	s_delay_alu instid0(SALU_CYCLE_1) | instskip(SKIP_2) | instid1(SALU_CYCLE_3)
	s_add_co_i32 s31, s3, 1
	s_not_b32 s3, s3
	s_cvt_f32_u32 s8, s31
	v_rcp_iflag_f32_e32 v1, s8
	v_nop
	s_delay_alu instid0(TRANS32_DEP_1) | instskip(SKIP_2) | instid1(SALU_CYCLE_3)
	v_readfirstlane_b32 s8, v1
	v_lshlrev_b32_e32 v1, 1, v15
	s_mul_f32 s8, s8, 0x4f7ffffe
	s_cvt_u32_f32 s8, s8
	s_delay_alu instid0(SALU_CYCLE_3) | instskip(NEXT) | instid1(SALU_CYCLE_1)
	s_mul_i32 s3, s3, s8
	s_mul_hi_u32 s3, s8, s3
	s_delay_alu instid0(SALU_CYCLE_1) | instskip(SKIP_4) | instid1(SALU_CYCLE_1)
	s_add_co_i32 s3, s8, s3
	s_cmp_eq_u32 s2, 0
	s_cselect_b32 s2, ttmp9, s9
	s_load_b256 s[8:15], s[0:1], 0x50
	s_mul_hi_u32 s3, s2, s3
	s_mul_i32 s33, s3, s31
	s_add_co_i32 s34, s3, 1
	s_sub_co_i32 s33, s2, s33
	s_delay_alu instid0(SALU_CYCLE_1)
	s_sub_co_i32 s35, s33, s31
	s_cmp_ge_u32 s33, s31
	s_cselect_b32 s3, s34, s3
	s_cselect_b32 s33, s35, s33
	s_add_co_i32 s34, s3, 1
	s_cmp_ge_u32 s33, s31
	s_cselect_b32 s3, s34, s3
	s_lshl_b64 s[20:21], s[20:21], 3
	s_mul_i32 s31, s3, s31
	v_lshl_add_u32 v4, s3, 6, v1
	s_sub_co_i32 s2, s2, s31
	s_wait_kmcnt 0x0
	s_lshl_b64 s[12:13], s[12:13], 3
	v_lshl_add_u32 v6, s2, 5, v16
	s_load_b64 s[2:3], s[0:1], 0x18
	v_or_b32_e32 v8, v4, v16
	v_dual_ashrrev_i32 v5, 31, v4 :: v_dual_bitop2_b32 v10, 1, v4 bitop3:0x54
	s_delay_alu instid0(VALU_DEP_3) | instskip(SKIP_1) | instid1(VALU_DEP_3)
	v_ashrrev_i32_e32 v7, 31, v6
	s_add_nc_u64 s[10:11], s[10:11], s[12:13]
	v_mul_u64_e32 v[12:13], s[22:23], v[8:9]
	s_delay_alu instid0(VALU_DEP_3)
	v_ashrrev_i32_e32 v11, 31, v10
	v_mul_u64_e32 v[0:1], s[14:15], v[4:5]
	v_mul_u64_e32 v[18:19], s[26:27], v[6:7]
	v_lshlrev_b32_e32 v5, 3, v16
	s_lshl_b64 s[22:23], s[24:25], 3
	v_mul_u64_e32 v[2:3], s[14:15], v[10:11]
	s_load_b64 s[14:15], s[0:1], 0x70
	s_wait_xcnt 0x0
	v_cmp_eq_u32_e64 s0, 0, v15
	v_cmp_gt_u32_e64 s1, 2, v16
	v_add_nc_u32_e32 v15, 0x200, v5
	v_add_nc_u32_e32 v16, v14, v5
	s_add_nc_u64 s[12:13], s[18:19], s[20:21]
	s_wait_kmcnt 0x0
	s_add_nc_u64 s[18:19], s[2:3], s[22:23]
	v_cmp_gt_i32_e64 s2, s5, v4
	v_lshl_add_u64 v[4:5], v[6:7], 3, s[10:11]
	v_cmp_neq_f64_e64 s10, s[6:7], 0
	v_cmp_gt_i32_e64 s3, s4, v6
	v_cmp_gt_u32_e64 s4, s5, v8
	v_cmp_gt_i32_e64 s5, s5, v10
	v_lshl_add_u64 v[6:7], v[12:13], 3, s[12:13]
	v_lshl_add_u64 v[8:9], v[18:19], 3, s[18:19]
	s_branch .LBB13_4
.LBB13_2:                               ;   in Loop: Header=BB13_4 Depth=1
	s_wait_xcnt 0x0
	s_or_b32 exec_lo, exec_lo, s11
.LBB13_3:                               ;   in Loop: Header=BB13_4 Depth=1
	s_add_co_i32 s28, s28, 0x10000
	s_delay_alu instid0(SALU_CYCLE_1)
	s_cmp_lt_u32 s28, s30
	s_cbranch_scc0 .LBB13_18
.LBB13_4:                               ; =>This Inner Loop Header: Depth=1
	s_and_not1_b32 vcc_lo, exec_lo, s10
	s_cbranch_vccnz .LBB13_3
; %bb.5:                                ;   in Loop: Header=BB13_4 Depth=1
	s_and_saveexec_b32 s11, s0
	s_cbranch_execz .LBB13_9
; %bb.6:                                ;   in Loop: Header=BB13_4 Depth=1
	v_mov_b64_e32 v[10:11], 0
	s_and_saveexec_b32 s12, s3
	s_cbranch_execz .LBB13_8
; %bb.7:                                ;   in Loop: Header=BB13_4 Depth=1
	s_mul_u64 s[18:19], s[16:17], s[28:29]
	s_delay_alu instid0(SALU_CYCLE_1)
	v_lshl_add_u64 v[10:11], s[18:19], 3, v[8:9]
	global_load_b64 v[10:11], v[10:11], off
.LBB13_8:                               ;   in Loop: Header=BB13_4 Depth=1
	s_wait_xcnt 0x0
	s_or_b32 exec_lo, exec_lo, s12
	s_wait_loadcnt 0x0
	ds_store_b64 v15, v[10:11]
.LBB13_9:                               ;   in Loop: Header=BB13_4 Depth=1
	s_or_b32 exec_lo, exec_lo, s11
	s_and_saveexec_b32 s11, s1
	s_cbranch_execz .LBB13_13
; %bb.10:                               ;   in Loop: Header=BB13_4 Depth=1
	v_mov_b64_e32 v[10:11], 0
	s_and_saveexec_b32 s12, s4
	s_cbranch_execz .LBB13_12
; %bb.11:                               ;   in Loop: Header=BB13_4 Depth=1
	s_mul_u64 s[18:19], s[8:9], s[28:29]
	s_delay_alu instid0(SALU_CYCLE_1)
	v_lshl_add_u64 v[10:11], s[18:19], 3, v[6:7]
	global_load_b64 v[10:11], v[10:11], off
.LBB13_12:                              ;   in Loop: Header=BB13_4 Depth=1
	s_wait_xcnt 0x0
	s_or_b32 exec_lo, exec_lo, s12
	s_wait_loadcnt 0x0
	ds_store_b64 v16, v[10:11]
.LBB13_13:                              ;   in Loop: Header=BB13_4 Depth=1
	s_or_b32 exec_lo, exec_lo, s11
	s_wait_dscnt 0x0
	s_barrier_signal -1
	s_barrier_wait -1
	s_and_saveexec_b32 s11, s3
	s_cbranch_execz .LBB13_2
; %bb.14:                               ;   in Loop: Header=BB13_4 Depth=1
	ds_load_b64 v[10:11], v15
	s_mul_u64 s[12:13], s[14:15], s[28:29]
	s_delay_alu instid0(SALU_CYCLE_1)
	v_lshl_add_u64 v[12:13], s[12:13], 3, v[4:5]
	s_wait_dscnt 0x0
	v_mul_f64_e32 v[10:11], s[6:7], v[10:11]
	s_and_saveexec_b32 s12, s2
	s_cbranch_execz .LBB13_16
; %bb.15:                               ;   in Loop: Header=BB13_4 Depth=1
	v_lshl_add_u64 v[18:19], v[0:1], 3, v[12:13]
	ds_load_b64 v[22:23], v14
	global_load_b64 v[20:21], v[18:19], off
	s_wait_loadcnt_dscnt 0x0
	v_fmac_f64_e32 v[20:21], v[10:11], v[22:23]
	global_store_b64 v[18:19], v[20:21], off
.LBB13_16:                              ;   in Loop: Header=BB13_4 Depth=1
	s_wait_xcnt 0x0
	s_or_b32 exec_lo, exec_lo, s12
	s_delay_alu instid0(SALU_CYCLE_1)
	s_and_b32 exec_lo, exec_lo, s5
	s_cbranch_execz .LBB13_2
; %bb.17:                               ;   in Loop: Header=BB13_4 Depth=1
	v_lshl_add_u64 v[12:13], v[2:3], 3, v[12:13]
	ds_load_b64 v[20:21], v14 offset:8
	global_load_b64 v[18:19], v[12:13], off
	s_wait_loadcnt_dscnt 0x0
	v_fmac_f64_e32 v[18:19], v[10:11], v[20:21]
	global_store_b64 v[12:13], v[18:19], off
	s_branch .LBB13_2
.LBB13_18:
	s_endpgm
	.section	.rodata,"a",@progbits
	.p2align	6, 0x0
	.amdhsa_kernel _ZL18rocblas_ger_kernelILi32ELi32ELi2ELb0EddPKdPdEviiT4_lT5_lllS4_lllT6_lmli
		.amdhsa_group_segment_fixed_size 768
		.amdhsa_private_segment_fixed_size 0
		.amdhsa_kernarg_size 124
		.amdhsa_user_sgpr_count 2
		.amdhsa_user_sgpr_dispatch_ptr 0
		.amdhsa_user_sgpr_queue_ptr 0
		.amdhsa_user_sgpr_kernarg_segment_ptr 1
		.amdhsa_user_sgpr_dispatch_id 0
		.amdhsa_user_sgpr_kernarg_preload_length 0
		.amdhsa_user_sgpr_kernarg_preload_offset 0
		.amdhsa_user_sgpr_private_segment_size 0
		.amdhsa_wavefront_size32 1
		.amdhsa_uses_dynamic_stack 0
		.amdhsa_enable_private_segment 0
		.amdhsa_system_sgpr_workgroup_id_x 1
		.amdhsa_system_sgpr_workgroup_id_y 0
		.amdhsa_system_sgpr_workgroup_id_z 1
		.amdhsa_system_sgpr_workgroup_info 0
		.amdhsa_system_vgpr_workitem_id 1
		.amdhsa_next_free_vgpr 24
		.amdhsa_next_free_sgpr 36
		.amdhsa_named_barrier_count 0
		.amdhsa_reserve_vcc 1
		.amdhsa_float_round_mode_32 0
		.amdhsa_float_round_mode_16_64 0
		.amdhsa_float_denorm_mode_32 3
		.amdhsa_float_denorm_mode_16_64 3
		.amdhsa_fp16_overflow 0
		.amdhsa_memory_ordered 1
		.amdhsa_forward_progress 1
		.amdhsa_inst_pref_size 7
		.amdhsa_round_robin_scheduling 0
		.amdhsa_exception_fp_ieee_invalid_op 0
		.amdhsa_exception_fp_denorm_src 0
		.amdhsa_exception_fp_ieee_div_zero 0
		.amdhsa_exception_fp_ieee_overflow 0
		.amdhsa_exception_fp_ieee_underflow 0
		.amdhsa_exception_fp_ieee_inexact 0
		.amdhsa_exception_int_div_zero 0
	.end_amdhsa_kernel
	.section	.text._ZL18rocblas_ger_kernelILi32ELi32ELi2ELb0EddPKdPdEviiT4_lT5_lllS4_lllT6_lmli,"axG",@progbits,_ZL18rocblas_ger_kernelILi32ELi32ELi2ELb0EddPKdPdEviiT4_lT5_lllS4_lllT6_lmli,comdat
.Lfunc_end13:
	.size	_ZL18rocblas_ger_kernelILi32ELi32ELi2ELb0EddPKdPdEviiT4_lT5_lllS4_lllT6_lmli, .Lfunc_end13-_ZL18rocblas_ger_kernelILi32ELi32ELi2ELb0EddPKdPdEviiT4_lT5_lllS4_lllT6_lmli
                                        ; -- End function
	.set _ZL18rocblas_ger_kernelILi32ELi32ELi2ELb0EddPKdPdEviiT4_lT5_lllS4_lllT6_lmli.num_vgpr, 24
	.set _ZL18rocblas_ger_kernelILi32ELi32ELi2ELb0EddPKdPdEviiT4_lT5_lllS4_lllT6_lmli.num_agpr, 0
	.set _ZL18rocblas_ger_kernelILi32ELi32ELi2ELb0EddPKdPdEviiT4_lT5_lllS4_lllT6_lmli.numbered_sgpr, 36
	.set _ZL18rocblas_ger_kernelILi32ELi32ELi2ELb0EddPKdPdEviiT4_lT5_lllS4_lllT6_lmli.num_named_barrier, 0
	.set _ZL18rocblas_ger_kernelILi32ELi32ELi2ELb0EddPKdPdEviiT4_lT5_lllS4_lllT6_lmli.private_seg_size, 0
	.set _ZL18rocblas_ger_kernelILi32ELi32ELi2ELb0EddPKdPdEviiT4_lT5_lllS4_lllT6_lmli.uses_vcc, 1
	.set _ZL18rocblas_ger_kernelILi32ELi32ELi2ELb0EddPKdPdEviiT4_lT5_lllS4_lllT6_lmli.uses_flat_scratch, 0
	.set _ZL18rocblas_ger_kernelILi32ELi32ELi2ELb0EddPKdPdEviiT4_lT5_lllS4_lllT6_lmli.has_dyn_sized_stack, 0
	.set _ZL18rocblas_ger_kernelILi32ELi32ELi2ELb0EddPKdPdEviiT4_lT5_lllS4_lllT6_lmli.has_recursion, 0
	.set _ZL18rocblas_ger_kernelILi32ELi32ELi2ELb0EddPKdPdEviiT4_lT5_lllS4_lllT6_lmli.has_indirect_call, 0
	.section	.AMDGPU.csdata,"",@progbits
; Kernel info:
; codeLenInByte = 896
; TotalNumSgprs: 38
; NumVgprs: 24
; ScratchSize: 0
; MemoryBound: 0
; FloatMode: 240
; IeeeMode: 1
; LDSByteSize: 768 bytes/workgroup (compile time only)
; SGPRBlocks: 0
; VGPRBlocks: 1
; NumSGPRsForWavesPerEU: 38
; NumVGPRsForWavesPerEU: 24
; NamedBarCnt: 0
; Occupancy: 16
; WaveLimiterHint : 0
; COMPUTE_PGM_RSRC2:SCRATCH_EN: 0
; COMPUTE_PGM_RSRC2:USER_SGPR: 2
; COMPUTE_PGM_RSRC2:TRAP_HANDLER: 0
; COMPUTE_PGM_RSRC2:TGID_X_EN: 1
; COMPUTE_PGM_RSRC2:TGID_Y_EN: 0
; COMPUTE_PGM_RSRC2:TGID_Z_EN: 1
; COMPUTE_PGM_RSRC2:TIDIG_COMP_CNT: 1
	.section	.text._ZL34rocblas_ger_double_buffered_kernelILb0ELi64ELi16ELi2E19rocblas_complex_numIfE24rocblas_internal_val_ptrIS1_EPKS1_PS1_EvbiiT4_lT5_lllS8_lllT6_lmli,"axG",@progbits,_ZL34rocblas_ger_double_buffered_kernelILb0ELi64ELi16ELi2E19rocblas_complex_numIfE24rocblas_internal_val_ptrIS1_EPKS1_PS1_EvbiiT4_lT5_lllS8_lllT6_lmli,comdat
	.globl	_ZL34rocblas_ger_double_buffered_kernelILb0ELi64ELi16ELi2E19rocblas_complex_numIfE24rocblas_internal_val_ptrIS1_EPKS1_PS1_EvbiiT4_lT5_lllS8_lllT6_lmli ; -- Begin function _ZL34rocblas_ger_double_buffered_kernelILb0ELi64ELi16ELi2E19rocblas_complex_numIfE24rocblas_internal_val_ptrIS1_EPKS1_PS1_EvbiiT4_lT5_lllS8_lllT6_lmli
	.p2align	8
	.type	_ZL34rocblas_ger_double_buffered_kernelILb0ELi64ELi16ELi2E19rocblas_complex_numIfE24rocblas_internal_val_ptrIS1_EPKS1_PS1_EvbiiT4_lT5_lllS8_lllT6_lmli,@function
_ZL34rocblas_ger_double_buffered_kernelILb0ELi64ELi16ELi2E19rocblas_complex_numIfE24rocblas_internal_val_ptrIS1_EPKS1_PS1_EvbiiT4_lT5_lllS8_lllT6_lmli: ; @_ZL34rocblas_ger_double_buffered_kernelILb0ELi64ELi16ELi2E19rocblas_complex_numIfE24rocblas_internal_val_ptrIS1_EPKS1_PS1_EvbiiT4_lT5_lllS8_lllT6_lmli
; %bb.0:
	s_load_b32 s30, s[0:1], 0x80
	s_bfe_u32 s2, ttmp6, 0x40014
	s_lshr_b32 s3, ttmp7, 16
	s_add_co_i32 s2, s2, 1
	s_bfe_u32 s4, ttmp6, 0x40008
	s_mul_i32 s2, s3, s2
	s_getreg_b32 s31, hwreg(HW_REG_IB_STS2, 6, 4)
	s_add_co_i32 s4, s4, s2
	s_cmp_eq_u32 s31, 0
	s_cselect_b32 s2, s3, s4
	s_mov_b32 s3, 0
	s_wait_kmcnt 0x0
	s_cmp_ge_u32 s2, s30
	s_cbranch_scc1 .LBB14_7
; %bb.1:
	v_dual_lshrrev_b32 v1, 4, v0 :: v_dual_mov_b32 v9, 0
	s_clause 0x1
	s_load_b128 s[24:27], s[0:1], 0x28
	s_load_b256 s[4:11], s[0:1], 0x58
	v_and_b32_e32 v2, 0x3ff, v0
	s_clause 0x1
	s_load_b256 s[12:19], s[0:1], 0x38
	s_load_b64 s[34:35], s[0:1], 0x20
	v_and_b32_e32 v1, 0xffc0, v1
	s_clause 0x2
	s_load_b32 s33, s[0:1], 0x0
	s_load_b128 s[20:23], s[0:1], 0x10
	s_load_b64 s[28:29], s[0:1], 0x78
	s_wait_xcnt 0x0
	s_mov_b32 s1, s3
	v_dual_add_nc_u32 v1, v1, v2 :: v_dual_bitop2_b32 v10, 31, v0 bitop3:0x40
	v_dual_mov_b32 v11, v9 :: v_dual_mov_b32 v3, v9
	s_delay_alu instid0(VALU_DEP_2) | instskip(NEXT) | instid1(VALU_DEP_1)
	v_dual_lshrrev_b32 v6, 4, v1 :: v_dual_bitop2_b32 v2, 32, v10 bitop3:0x54
	v_and_b32_e32 v8, 0x1ffe, v6
	s_wait_kmcnt 0x0
	s_delay_alu instid0(VALU_DEP_3) | instskip(NEXT) | instid1(VALU_DEP_3)
	v_mul_u64_e32 v[0:1], s[26:27], v[10:11]
	v_mul_u64_e32 v[2:3], s[26:27], v[2:3]
	s_delay_alu instid0(VALU_DEP_3)
	v_mul_u64_e32 v[12:13], s[10:11], v[8:9]
	v_mul_u64_e32 v[4:5], s[18:19], v[8:9]
	v_or_b32_e32 v8, 1, v6
	s_bitcmp1_b32 s33, 0
	s_cselect_b32 s0, -1, 0
	s_bfe_u32 s36, ttmp6, 0x4000c
	s_bfe_u32 s38, ttmp6, 0x40010
	v_mul_u64_e32 v[6:7], s[18:19], v[8:9]
	s_and_b32 s37, ttmp7, 0xffff
	s_add_co_i32 s36, s36, 1
	s_add_co_i32 s38, s38, 1
	s_and_b32 s33, ttmp6, 15
	s_bfe_u32 s39, ttmp6, 0x40004
	s_xor_b32 s40, s0, -1
	s_mul_i32 s0, ttmp9, s36
	s_mul_i32 s36, s37, s38
	s_lshl_b64 s[8:9], s[8:9], 3
	s_lshl_b64 s[16:17], s[16:17], 3
	;; [unrolled: 1-line block ×3, first 2 shown]
	s_add_co_i32 s33, s33, s0
	s_add_co_i32 s39, s39, s36
	s_cmp_eq_u32 s31, 0
	s_add_nc_u64 s[6:7], s[6:7], s[8:9]
	s_cselect_b32 s0, ttmp9, s33
	s_cselect_b32 s9, s37, s39
	s_lshl_b32 s8, s0, 6
	s_lshl_b32 s0, s9, 6
	s_ashr_i32 s9, s8, 31
	s_mul_u64 s[36:37], s[10:11], s[0:1]
	s_lshl_b64 s[38:39], s[8:9], 3
	s_lshl_b64 s[36:37], s[36:37], 3
	s_add_nc_u64 s[6:7], s[6:7], s[38:39]
	v_lshlrev_b32_e32 v8, 3, v10
	s_add_nc_u64 s[6:7], s[6:7], s[36:37]
	s_add_nc_u64 s[14:15], s[14:15], s[16:17]
	v_lshl_add_u64 v[10:11], v[12:13], 3, s[6:7]
	v_cndmask_b32_e64 v12, 0, 1, s40
	s_mul_u64 s[6:7], s[26:27], s[8:9]
	s_mul_u64 s[16:17], s[18:19], s[0:1]
	s_add_nc_u64 s[8:9], s[34:35], s[24:25]
	v_add_nc_u64_e32 v[8:9], v[10:11], v[8:9]
	v_cmp_ne_u32_e64 s0, 1, v12
	s_lshl_b64 s[6:7], s[6:7], 3
	s_lshl_b64 s[16:17], s[16:17], 3
	s_add_nc_u64 s[6:7], s[8:9], s[6:7]
	s_add_nc_u64 s[8:9], s[14:15], s[16:17]
	s_branch .LBB14_3
.LBB14_2:                               ;   in Loop: Header=BB14_3 Depth=1
	s_add_co_i32 s2, s2, 0x10000
	s_delay_alu instid0(SALU_CYCLE_1)
	s_cmp_lt_u32 s2, s30
	s_cbranch_scc0 .LBB14_7
.LBB14_3:                               ; =>This Inner Loop Header: Depth=1
	s_and_b32 vcc_lo, exec_lo, s0
	s_mov_b64 s[14:15], s[20:21]
	s_cbranch_vccnz .LBB14_5
; %bb.4:                                ;   in Loop: Header=BB14_3 Depth=1
	s_mul_u64 s[14:15], s[22:23], s[2:3]
	s_delay_alu instid0(SALU_CYCLE_1) | instskip(NEXT) | instid1(SALU_CYCLE_1)
	s_lshl_b64 s[14:15], s[14:15], 3
	s_add_nc_u64 s[16:17], s[20:21], s[14:15]
	s_load_b64 s[14:15], s[16:17], 0x0
.LBB14_5:                               ;   in Loop: Header=BB14_3 Depth=1
	s_wait_kmcnt 0x0
	s_cmp_neq_f32 s15, 0
	s_cselect_b32 s1, -1, 0
	s_cmp_neq_f32 s14, 0
	s_wait_xcnt 0x0
	s_cselect_b32 s16, -1, 0
	s_delay_alu instid0(SALU_CYCLE_1) | instskip(NEXT) | instid1(SALU_CYCLE_1)
	s_or_b32 s1, s16, s1
	s_and_not1_b32 vcc_lo, exec_lo, s1
	s_cbranch_vccnz .LBB14_2
; %bb.6:                                ;   in Loop: Header=BB14_3 Depth=1
	s_mul_u64 s[16:17], s[12:13], s[2:3]
	s_mul_u64 s[18:19], s[4:5], s[2:3]
	s_lshl_b64 s[16:17], s[16:17], 3
	s_delay_alu instid0(SALU_CYCLE_1) | instskip(NEXT) | instid1(SALU_CYCLE_1)
	s_add_nc_u64 s[16:17], s[6:7], s[16:17]
	v_lshl_add_u64 v[10:11], v[0:1], 3, s[16:17]
	v_lshl_add_u64 v[12:13], v[2:3], 3, s[16:17]
	s_lshl_b64 s[16:17], s[18:19], 3
	s_delay_alu instid0(SALU_CYCLE_1)
	s_add_nc_u64 s[16:17], s[8:9], s[16:17]
	s_clause 0x1
	global_load_b64 v[10:11], v[10:11], off
	global_load_b64 v[12:13], v[12:13], off
	v_lshl_add_u64 v[14:15], v[6:7], 3, s[16:17]
	v_lshl_add_u64 v[16:17], v[4:5], 3, s[16:17]
	s_clause 0x1
	global_load_b64 v[18:19], v[14:15], off
	global_load_b64 v[20:21], v[16:17], off
	s_mul_u64 s[16:17], s[28:29], s[2:3]
	s_wait_xcnt 0x1
	v_lshl_add_u64 v[14:15], s[16:17], 3, v[8:9]
	s_wait_xcnt 0x0
	s_delay_alu instid0(VALU_DEP_1)
	v_lshl_add_u64 v[16:17], s[10:11], 3, v[14:15]
	s_clause 0x3
	global_load_b64 v[22:23], v[14:15], off
	global_load_b64 v[24:25], v[16:17], off
	global_load_b64 v[26:27], v[16:17], off offset:256
	global_load_b64 v[28:29], v[14:15], off offset:256
	s_wait_loadcnt 0x6
	v_dual_mul_f32 v30, s14, v11 :: v_dual_mul_f32 v32, s14, v13
	v_dual_mul_f32 v11, s15, v11 :: v_dual_mul_f32 v13, s15, v13
	s_delay_alu instid0(VALU_DEP_2) | instskip(NEXT) | instid1(VALU_DEP_2)
	v_dual_fmac_f32 v30, s15, v10 :: v_dual_fmac_f32 v32, s15, v12
	v_dual_fma_f32 v10, s14, v10, -v11 :: v_dual_fma_f32 v12, s14, v12, -v13
	s_wait_loadcnt 0x5
	s_delay_alu instid0(VALU_DEP_2)
	v_pk_mul_f32 v[34:35], v[30:31], v[18:19] op_sel_hi:[0,1]
	s_wait_loadcnt 0x4
	v_pk_mul_f32 v[30:31], v[30:31], v[20:21] op_sel_hi:[0,1]
	v_pk_mul_f32 v[36:37], v[32:33], v[18:19] op_sel_hi:[0,1]
	;; [unrolled: 1-line block ×3, first 2 shown]
	v_pk_fma_f32 v[38:39], v[10:11], v[18:19], v[34:35] op_sel:[0,0,1] op_sel_hi:[1,1,0] neg_lo:[0,0,1] neg_hi:[0,0,1]
	v_pk_fma_f32 v[34:35], v[10:11], v[18:19], v[34:35] op_sel:[0,0,1] op_sel_hi:[0,1,0]
	v_pk_fma_f32 v[40:41], v[10:11], v[20:21], v[30:31] op_sel:[0,0,1] op_sel_hi:[1,1,0] neg_lo:[0,0,1] neg_hi:[0,0,1]
	v_pk_fma_f32 v[10:11], v[10:11], v[20:21], v[30:31] op_sel:[0,0,1] op_sel_hi:[0,1,0]
	v_pk_fma_f32 v[42:43], v[12:13], v[20:21], v[32:33] op_sel:[0,0,1] op_sel_hi:[0,1,0]
	v_pk_fma_f32 v[30:31], v[12:13], v[18:19], v[36:37] op_sel:[0,0,1] op_sel_hi:[1,1,0] neg_lo:[0,0,1] neg_hi:[0,0,1]
	v_pk_fma_f32 v[18:19], v[12:13], v[18:19], v[36:37] op_sel:[0,0,1] op_sel_hi:[0,1,0]
	v_pk_fma_f32 v[12:13], v[12:13], v[20:21], v[32:33] op_sel:[0,0,1] op_sel_hi:[1,1,0] neg_lo:[0,0,1] neg_hi:[0,0,1]
	v_dual_mov_b32 v41, v11 :: v_dual_mov_b32 v39, v35
	s_delay_alu instid0(VALU_DEP_3) | instskip(SKIP_1) | instid1(VALU_DEP_2)
	v_dual_mov_b32 v13, v43 :: v_dual_mov_b32 v31, v19
	s_wait_loadcnt 0x3
	v_pk_add_f32 v[10:11], v[22:23], v[40:41]
	s_wait_loadcnt 0x2
	v_pk_add_f32 v[18:19], v[24:25], v[38:39]
	;; [unrolled: 2-line block ×3, first 2 shown]
	v_pk_add_f32 v[20:21], v[26:27], v[30:31]
	s_clause 0x3
	global_store_b64 v[14:15], v[10:11], off
	global_store_b64 v[16:17], v[18:19], off
	global_store_b64 v[14:15], v[12:13], off offset:256
	global_store_b64 v[16:17], v[20:21], off offset:256
	s_branch .LBB14_2
.LBB14_7:
	s_endpgm
	.section	.rodata,"a",@progbits
	.p2align	6, 0x0
	.amdhsa_kernel _ZL34rocblas_ger_double_buffered_kernelILb0ELi64ELi16ELi2E19rocblas_complex_numIfE24rocblas_internal_val_ptrIS1_EPKS1_PS1_EvbiiT4_lT5_lllS8_lllT6_lmli
		.amdhsa_group_segment_fixed_size 0
		.amdhsa_private_segment_fixed_size 0
		.amdhsa_kernarg_size 132
		.amdhsa_user_sgpr_count 2
		.amdhsa_user_sgpr_dispatch_ptr 0
		.amdhsa_user_sgpr_queue_ptr 0
		.amdhsa_user_sgpr_kernarg_segment_ptr 1
		.amdhsa_user_sgpr_dispatch_id 0
		.amdhsa_user_sgpr_kernarg_preload_length 0
		.amdhsa_user_sgpr_kernarg_preload_offset 0
		.amdhsa_user_sgpr_private_segment_size 0
		.amdhsa_wavefront_size32 1
		.amdhsa_uses_dynamic_stack 0
		.amdhsa_enable_private_segment 0
		.amdhsa_system_sgpr_workgroup_id_x 1
		.amdhsa_system_sgpr_workgroup_id_y 1
		.amdhsa_system_sgpr_workgroup_id_z 1
		.amdhsa_system_sgpr_workgroup_info 0
		.amdhsa_system_vgpr_workitem_id 1
		.amdhsa_next_free_vgpr 44
		.amdhsa_next_free_sgpr 41
		.amdhsa_named_barrier_count 0
		.amdhsa_reserve_vcc 1
		.amdhsa_float_round_mode_32 0
		.amdhsa_float_round_mode_16_64 0
		.amdhsa_float_denorm_mode_32 3
		.amdhsa_float_denorm_mode_16_64 3
		.amdhsa_fp16_overflow 0
		.amdhsa_memory_ordered 1
		.amdhsa_forward_progress 1
		.amdhsa_inst_pref_size 9
		.amdhsa_round_robin_scheduling 0
		.amdhsa_exception_fp_ieee_invalid_op 0
		.amdhsa_exception_fp_denorm_src 0
		.amdhsa_exception_fp_ieee_div_zero 0
		.amdhsa_exception_fp_ieee_overflow 0
		.amdhsa_exception_fp_ieee_underflow 0
		.amdhsa_exception_fp_ieee_inexact 0
		.amdhsa_exception_int_div_zero 0
	.end_amdhsa_kernel
	.section	.text._ZL34rocblas_ger_double_buffered_kernelILb0ELi64ELi16ELi2E19rocblas_complex_numIfE24rocblas_internal_val_ptrIS1_EPKS1_PS1_EvbiiT4_lT5_lllS8_lllT6_lmli,"axG",@progbits,_ZL34rocblas_ger_double_buffered_kernelILb0ELi64ELi16ELi2E19rocblas_complex_numIfE24rocblas_internal_val_ptrIS1_EPKS1_PS1_EvbiiT4_lT5_lllS8_lllT6_lmli,comdat
.Lfunc_end14:
	.size	_ZL34rocblas_ger_double_buffered_kernelILb0ELi64ELi16ELi2E19rocblas_complex_numIfE24rocblas_internal_val_ptrIS1_EPKS1_PS1_EvbiiT4_lT5_lllS8_lllT6_lmli, .Lfunc_end14-_ZL34rocblas_ger_double_buffered_kernelILb0ELi64ELi16ELi2E19rocblas_complex_numIfE24rocblas_internal_val_ptrIS1_EPKS1_PS1_EvbiiT4_lT5_lllS8_lllT6_lmli
                                        ; -- End function
	.set _ZL34rocblas_ger_double_buffered_kernelILb0ELi64ELi16ELi2E19rocblas_complex_numIfE24rocblas_internal_val_ptrIS1_EPKS1_PS1_EvbiiT4_lT5_lllS8_lllT6_lmli.num_vgpr, 44
	.set _ZL34rocblas_ger_double_buffered_kernelILb0ELi64ELi16ELi2E19rocblas_complex_numIfE24rocblas_internal_val_ptrIS1_EPKS1_PS1_EvbiiT4_lT5_lllS8_lllT6_lmli.num_agpr, 0
	.set _ZL34rocblas_ger_double_buffered_kernelILb0ELi64ELi16ELi2E19rocblas_complex_numIfE24rocblas_internal_val_ptrIS1_EPKS1_PS1_EvbiiT4_lT5_lllS8_lllT6_lmli.numbered_sgpr, 41
	.set _ZL34rocblas_ger_double_buffered_kernelILb0ELi64ELi16ELi2E19rocblas_complex_numIfE24rocblas_internal_val_ptrIS1_EPKS1_PS1_EvbiiT4_lT5_lllS8_lllT6_lmli.num_named_barrier, 0
	.set _ZL34rocblas_ger_double_buffered_kernelILb0ELi64ELi16ELi2E19rocblas_complex_numIfE24rocblas_internal_val_ptrIS1_EPKS1_PS1_EvbiiT4_lT5_lllS8_lllT6_lmli.private_seg_size, 0
	.set _ZL34rocblas_ger_double_buffered_kernelILb0ELi64ELi16ELi2E19rocblas_complex_numIfE24rocblas_internal_val_ptrIS1_EPKS1_PS1_EvbiiT4_lT5_lllS8_lllT6_lmli.uses_vcc, 1
	.set _ZL34rocblas_ger_double_buffered_kernelILb0ELi64ELi16ELi2E19rocblas_complex_numIfE24rocblas_internal_val_ptrIS1_EPKS1_PS1_EvbiiT4_lT5_lllS8_lllT6_lmli.uses_flat_scratch, 0
	.set _ZL34rocblas_ger_double_buffered_kernelILb0ELi64ELi16ELi2E19rocblas_complex_numIfE24rocblas_internal_val_ptrIS1_EPKS1_PS1_EvbiiT4_lT5_lllS8_lllT6_lmli.has_dyn_sized_stack, 0
	.set _ZL34rocblas_ger_double_buffered_kernelILb0ELi64ELi16ELi2E19rocblas_complex_numIfE24rocblas_internal_val_ptrIS1_EPKS1_PS1_EvbiiT4_lT5_lllS8_lllT6_lmli.has_recursion, 0
	.set _ZL34rocblas_ger_double_buffered_kernelILb0ELi64ELi16ELi2E19rocblas_complex_numIfE24rocblas_internal_val_ptrIS1_EPKS1_PS1_EvbiiT4_lT5_lllS8_lllT6_lmli.has_indirect_call, 0
	.section	.AMDGPU.csdata,"",@progbits
; Kernel info:
; codeLenInByte = 1052
; TotalNumSgprs: 43
; NumVgprs: 44
; ScratchSize: 0
; MemoryBound: 0
; FloatMode: 240
; IeeeMode: 1
; LDSByteSize: 0 bytes/workgroup (compile time only)
; SGPRBlocks: 0
; VGPRBlocks: 2
; NumSGPRsForWavesPerEU: 43
; NumVGPRsForWavesPerEU: 44
; NamedBarCnt: 0
; Occupancy: 16
; WaveLimiterHint : 1
; COMPUTE_PGM_RSRC2:SCRATCH_EN: 0
; COMPUTE_PGM_RSRC2:USER_SGPR: 2
; COMPUTE_PGM_RSRC2:TRAP_HANDLER: 0
; COMPUTE_PGM_RSRC2:TGID_X_EN: 1
; COMPUTE_PGM_RSRC2:TGID_Y_EN: 1
; COMPUTE_PGM_RSRC2:TGID_Z_EN: 1
; COMPUTE_PGM_RSRC2:TIDIG_COMP_CNT: 1
	.section	.text._ZL26rocblas_sger_gfx942_kernelILi256E19rocblas_complex_numIfEPKS1_S3_PS1_EviiT1_lT2_lllS6_lllT3_lll,"axG",@progbits,_ZL26rocblas_sger_gfx942_kernelILi256E19rocblas_complex_numIfEPKS1_S3_PS1_EviiT1_lT2_lllS6_lllT3_lll,comdat
	.globl	_ZL26rocblas_sger_gfx942_kernelILi256E19rocblas_complex_numIfEPKS1_S3_PS1_EviiT1_lT2_lllS6_lllT3_lll ; -- Begin function _ZL26rocblas_sger_gfx942_kernelILi256E19rocblas_complex_numIfEPKS1_S3_PS1_EviiT1_lT2_lllS6_lllT3_lll
	.p2align	8
	.type	_ZL26rocblas_sger_gfx942_kernelILi256E19rocblas_complex_numIfEPKS1_S3_PS1_EviiT1_lT2_lllS6_lllT3_lll,@function
_ZL26rocblas_sger_gfx942_kernelILi256E19rocblas_complex_numIfEPKS1_S3_PS1_EviiT1_lT2_lllS6_lllT3_lll: ; @_ZL26rocblas_sger_gfx942_kernelILi256E19rocblas_complex_numIfEPKS1_S3_PS1_EviiT1_lT2_lllS6_lllT3_lll
; %bb.0:
	s_endpgm
	.section	.rodata,"a",@progbits
	.p2align	6, 0x0
	.amdhsa_kernel _ZL26rocblas_sger_gfx942_kernelILi256E19rocblas_complex_numIfEPKS1_S3_PS1_EviiT1_lT2_lllS6_lllT3_lll
		.amdhsa_group_segment_fixed_size 0
		.amdhsa_private_segment_fixed_size 0
		.amdhsa_kernarg_size 120
		.amdhsa_user_sgpr_count 2
		.amdhsa_user_sgpr_dispatch_ptr 0
		.amdhsa_user_sgpr_queue_ptr 0
		.amdhsa_user_sgpr_kernarg_segment_ptr 1
		.amdhsa_user_sgpr_dispatch_id 0
		.amdhsa_user_sgpr_kernarg_preload_length 0
		.amdhsa_user_sgpr_kernarg_preload_offset 0
		.amdhsa_user_sgpr_private_segment_size 0
		.amdhsa_wavefront_size32 1
		.amdhsa_uses_dynamic_stack 0
		.amdhsa_enable_private_segment 0
		.amdhsa_system_sgpr_workgroup_id_x 1
		.amdhsa_system_sgpr_workgroup_id_y 0
		.amdhsa_system_sgpr_workgroup_id_z 0
		.amdhsa_system_sgpr_workgroup_info 0
		.amdhsa_system_vgpr_workitem_id 0
		.amdhsa_next_free_vgpr 1
		.amdhsa_next_free_sgpr 1
		.amdhsa_named_barrier_count 0
		.amdhsa_reserve_vcc 0
		.amdhsa_float_round_mode_32 0
		.amdhsa_float_round_mode_16_64 0
		.amdhsa_float_denorm_mode_32 3
		.amdhsa_float_denorm_mode_16_64 3
		.amdhsa_fp16_overflow 0
		.amdhsa_memory_ordered 1
		.amdhsa_forward_progress 1
		.amdhsa_inst_pref_size 1
		.amdhsa_round_robin_scheduling 0
		.amdhsa_exception_fp_ieee_invalid_op 0
		.amdhsa_exception_fp_denorm_src 0
		.amdhsa_exception_fp_ieee_div_zero 0
		.amdhsa_exception_fp_ieee_overflow 0
		.amdhsa_exception_fp_ieee_underflow 0
		.amdhsa_exception_fp_ieee_inexact 0
		.amdhsa_exception_int_div_zero 0
	.end_amdhsa_kernel
	.section	.text._ZL26rocblas_sger_gfx942_kernelILi256E19rocblas_complex_numIfEPKS1_S3_PS1_EviiT1_lT2_lllS6_lllT3_lll,"axG",@progbits,_ZL26rocblas_sger_gfx942_kernelILi256E19rocblas_complex_numIfEPKS1_S3_PS1_EviiT1_lT2_lllS6_lllT3_lll,comdat
.Lfunc_end15:
	.size	_ZL26rocblas_sger_gfx942_kernelILi256E19rocblas_complex_numIfEPKS1_S3_PS1_EviiT1_lT2_lllS6_lllT3_lll, .Lfunc_end15-_ZL26rocblas_sger_gfx942_kernelILi256E19rocblas_complex_numIfEPKS1_S3_PS1_EviiT1_lT2_lllS6_lllT3_lll
                                        ; -- End function
	.set _ZL26rocblas_sger_gfx942_kernelILi256E19rocblas_complex_numIfEPKS1_S3_PS1_EviiT1_lT2_lllS6_lllT3_lll.num_vgpr, 0
	.set _ZL26rocblas_sger_gfx942_kernelILi256E19rocblas_complex_numIfEPKS1_S3_PS1_EviiT1_lT2_lllS6_lllT3_lll.num_agpr, 0
	.set _ZL26rocblas_sger_gfx942_kernelILi256E19rocblas_complex_numIfEPKS1_S3_PS1_EviiT1_lT2_lllS6_lllT3_lll.numbered_sgpr, 0
	.set _ZL26rocblas_sger_gfx942_kernelILi256E19rocblas_complex_numIfEPKS1_S3_PS1_EviiT1_lT2_lllS6_lllT3_lll.num_named_barrier, 0
	.set _ZL26rocblas_sger_gfx942_kernelILi256E19rocblas_complex_numIfEPKS1_S3_PS1_EviiT1_lT2_lllS6_lllT3_lll.private_seg_size, 0
	.set _ZL26rocblas_sger_gfx942_kernelILi256E19rocblas_complex_numIfEPKS1_S3_PS1_EviiT1_lT2_lllS6_lllT3_lll.uses_vcc, 0
	.set _ZL26rocblas_sger_gfx942_kernelILi256E19rocblas_complex_numIfEPKS1_S3_PS1_EviiT1_lT2_lllS6_lllT3_lll.uses_flat_scratch, 0
	.set _ZL26rocblas_sger_gfx942_kernelILi256E19rocblas_complex_numIfEPKS1_S3_PS1_EviiT1_lT2_lllS6_lllT3_lll.has_dyn_sized_stack, 0
	.set _ZL26rocblas_sger_gfx942_kernelILi256E19rocblas_complex_numIfEPKS1_S3_PS1_EviiT1_lT2_lllS6_lllT3_lll.has_recursion, 0
	.set _ZL26rocblas_sger_gfx942_kernelILi256E19rocblas_complex_numIfEPKS1_S3_PS1_EviiT1_lT2_lllS6_lllT3_lll.has_indirect_call, 0
	.section	.AMDGPU.csdata,"",@progbits
; Kernel info:
; codeLenInByte = 4
; TotalNumSgprs: 0
; NumVgprs: 0
; ScratchSize: 0
; MemoryBound: 0
; FloatMode: 240
; IeeeMode: 1
; LDSByteSize: 0 bytes/workgroup (compile time only)
; SGPRBlocks: 0
; VGPRBlocks: 0
; NumSGPRsForWavesPerEU: 1
; NumVGPRsForWavesPerEU: 1
; NamedBarCnt: 0
; Occupancy: 16
; WaveLimiterHint : 0
; COMPUTE_PGM_RSRC2:SCRATCH_EN: 0
; COMPUTE_PGM_RSRC2:USER_SGPR: 2
; COMPUTE_PGM_RSRC2:TRAP_HANDLER: 0
; COMPUTE_PGM_RSRC2:TGID_X_EN: 1
; COMPUTE_PGM_RSRC2:TGID_Y_EN: 0
; COMPUTE_PGM_RSRC2:TGID_Z_EN: 0
; COMPUTE_PGM_RSRC2:TIDIG_COMP_CNT: 0
	.section	.text._ZL26rocblas_sger_gfx942_kernelILi256E19rocblas_complex_numIfES1_PKS1_PS1_EviiT1_lT2_lllS6_lllT3_lll,"axG",@progbits,_ZL26rocblas_sger_gfx942_kernelILi256E19rocblas_complex_numIfES1_PKS1_PS1_EviiT1_lT2_lllS6_lllT3_lll,comdat
	.globl	_ZL26rocblas_sger_gfx942_kernelILi256E19rocblas_complex_numIfES1_PKS1_PS1_EviiT1_lT2_lllS6_lllT3_lll ; -- Begin function _ZL26rocblas_sger_gfx942_kernelILi256E19rocblas_complex_numIfES1_PKS1_PS1_EviiT1_lT2_lllS6_lllT3_lll
	.p2align	8
	.type	_ZL26rocblas_sger_gfx942_kernelILi256E19rocblas_complex_numIfES1_PKS1_PS1_EviiT1_lT2_lllS6_lllT3_lll,@function
_ZL26rocblas_sger_gfx942_kernelILi256E19rocblas_complex_numIfES1_PKS1_PS1_EviiT1_lT2_lllS6_lllT3_lll: ; @_ZL26rocblas_sger_gfx942_kernelILi256E19rocblas_complex_numIfES1_PKS1_PS1_EviiT1_lT2_lllS6_lllT3_lll
; %bb.0:
	s_endpgm
	.section	.rodata,"a",@progbits
	.p2align	6, 0x0
	.amdhsa_kernel _ZL26rocblas_sger_gfx942_kernelILi256E19rocblas_complex_numIfES1_PKS1_PS1_EviiT1_lT2_lllS6_lllT3_lll
		.amdhsa_group_segment_fixed_size 0
		.amdhsa_private_segment_fixed_size 0
		.amdhsa_kernarg_size 120
		.amdhsa_user_sgpr_count 2
		.amdhsa_user_sgpr_dispatch_ptr 0
		.amdhsa_user_sgpr_queue_ptr 0
		.amdhsa_user_sgpr_kernarg_segment_ptr 1
		.amdhsa_user_sgpr_dispatch_id 0
		.amdhsa_user_sgpr_kernarg_preload_length 0
		.amdhsa_user_sgpr_kernarg_preload_offset 0
		.amdhsa_user_sgpr_private_segment_size 0
		.amdhsa_wavefront_size32 1
		.amdhsa_uses_dynamic_stack 0
		.amdhsa_enable_private_segment 0
		.amdhsa_system_sgpr_workgroup_id_x 1
		.amdhsa_system_sgpr_workgroup_id_y 0
		.amdhsa_system_sgpr_workgroup_id_z 0
		.amdhsa_system_sgpr_workgroup_info 0
		.amdhsa_system_vgpr_workitem_id 0
		.amdhsa_next_free_vgpr 1
		.amdhsa_next_free_sgpr 1
		.amdhsa_named_barrier_count 0
		.amdhsa_reserve_vcc 0
		.amdhsa_float_round_mode_32 0
		.amdhsa_float_round_mode_16_64 0
		.amdhsa_float_denorm_mode_32 3
		.amdhsa_float_denorm_mode_16_64 3
		.amdhsa_fp16_overflow 0
		.amdhsa_memory_ordered 1
		.amdhsa_forward_progress 1
		.amdhsa_inst_pref_size 1
		.amdhsa_round_robin_scheduling 0
		.amdhsa_exception_fp_ieee_invalid_op 0
		.amdhsa_exception_fp_denorm_src 0
		.amdhsa_exception_fp_ieee_div_zero 0
		.amdhsa_exception_fp_ieee_overflow 0
		.amdhsa_exception_fp_ieee_underflow 0
		.amdhsa_exception_fp_ieee_inexact 0
		.amdhsa_exception_int_div_zero 0
	.end_amdhsa_kernel
	.section	.text._ZL26rocblas_sger_gfx942_kernelILi256E19rocblas_complex_numIfES1_PKS1_PS1_EviiT1_lT2_lllS6_lllT3_lll,"axG",@progbits,_ZL26rocblas_sger_gfx942_kernelILi256E19rocblas_complex_numIfES1_PKS1_PS1_EviiT1_lT2_lllS6_lllT3_lll,comdat
.Lfunc_end16:
	.size	_ZL26rocblas_sger_gfx942_kernelILi256E19rocblas_complex_numIfES1_PKS1_PS1_EviiT1_lT2_lllS6_lllT3_lll, .Lfunc_end16-_ZL26rocblas_sger_gfx942_kernelILi256E19rocblas_complex_numIfES1_PKS1_PS1_EviiT1_lT2_lllS6_lllT3_lll
                                        ; -- End function
	.set _ZL26rocblas_sger_gfx942_kernelILi256E19rocblas_complex_numIfES1_PKS1_PS1_EviiT1_lT2_lllS6_lllT3_lll.num_vgpr, 0
	.set _ZL26rocblas_sger_gfx942_kernelILi256E19rocblas_complex_numIfES1_PKS1_PS1_EviiT1_lT2_lllS6_lllT3_lll.num_agpr, 0
	.set _ZL26rocblas_sger_gfx942_kernelILi256E19rocblas_complex_numIfES1_PKS1_PS1_EviiT1_lT2_lllS6_lllT3_lll.numbered_sgpr, 0
	.set _ZL26rocblas_sger_gfx942_kernelILi256E19rocblas_complex_numIfES1_PKS1_PS1_EviiT1_lT2_lllS6_lllT3_lll.num_named_barrier, 0
	.set _ZL26rocblas_sger_gfx942_kernelILi256E19rocblas_complex_numIfES1_PKS1_PS1_EviiT1_lT2_lllS6_lllT3_lll.private_seg_size, 0
	.set _ZL26rocblas_sger_gfx942_kernelILi256E19rocblas_complex_numIfES1_PKS1_PS1_EviiT1_lT2_lllS6_lllT3_lll.uses_vcc, 0
	.set _ZL26rocblas_sger_gfx942_kernelILi256E19rocblas_complex_numIfES1_PKS1_PS1_EviiT1_lT2_lllS6_lllT3_lll.uses_flat_scratch, 0
	.set _ZL26rocblas_sger_gfx942_kernelILi256E19rocblas_complex_numIfES1_PKS1_PS1_EviiT1_lT2_lllS6_lllT3_lll.has_dyn_sized_stack, 0
	.set _ZL26rocblas_sger_gfx942_kernelILi256E19rocblas_complex_numIfES1_PKS1_PS1_EviiT1_lT2_lllS6_lllT3_lll.has_recursion, 0
	.set _ZL26rocblas_sger_gfx942_kernelILi256E19rocblas_complex_numIfES1_PKS1_PS1_EviiT1_lT2_lllS6_lllT3_lll.has_indirect_call, 0
	.section	.AMDGPU.csdata,"",@progbits
; Kernel info:
; codeLenInByte = 4
; TotalNumSgprs: 0
; NumVgprs: 0
; ScratchSize: 0
; MemoryBound: 0
; FloatMode: 240
; IeeeMode: 1
; LDSByteSize: 0 bytes/workgroup (compile time only)
; SGPRBlocks: 0
; VGPRBlocks: 0
; NumSGPRsForWavesPerEU: 1
; NumVGPRsForWavesPerEU: 1
; NamedBarCnt: 0
; Occupancy: 16
; WaveLimiterHint : 0
; COMPUTE_PGM_RSRC2:SCRATCH_EN: 0
; COMPUTE_PGM_RSRC2:USER_SGPR: 2
; COMPUTE_PGM_RSRC2:TRAP_HANDLER: 0
; COMPUTE_PGM_RSRC2:TGID_X_EN: 1
; COMPUTE_PGM_RSRC2:TGID_Y_EN: 0
; COMPUTE_PGM_RSRC2:TGID_Z_EN: 0
; COMPUTE_PGM_RSRC2:TIDIG_COMP_CNT: 0
	.section	.text._ZL19rocblas_sger_kernelILi1024E19rocblas_complex_numIfEPKS1_S3_PS1_EviiT1_lT2_lllS6_lllT3_lmli,"axG",@progbits,_ZL19rocblas_sger_kernelILi1024E19rocblas_complex_numIfEPKS1_S3_PS1_EviiT1_lT2_lllS6_lllT3_lmli,comdat
	.globl	_ZL19rocblas_sger_kernelILi1024E19rocblas_complex_numIfEPKS1_S3_PS1_EviiT1_lT2_lllS6_lllT3_lmli ; -- Begin function _ZL19rocblas_sger_kernelILi1024E19rocblas_complex_numIfEPKS1_S3_PS1_EviiT1_lT2_lllS6_lllT3_lmli
	.p2align	8
	.type	_ZL19rocblas_sger_kernelILi1024E19rocblas_complex_numIfEPKS1_S3_PS1_EviiT1_lT2_lllS6_lllT3_lmli,@function
_ZL19rocblas_sger_kernelILi1024E19rocblas_complex_numIfEPKS1_S3_PS1_EviiT1_lT2_lllS6_lllT3_lmli: ; @_ZL19rocblas_sger_kernelILi1024E19rocblas_complex_numIfEPKS1_S3_PS1_EviiT1_lT2_lllS6_lllT3_lmli
; %bb.0:
	s_load_b32 s3, s[0:1], 0x78
	s_bfe_u32 s2, ttmp6, 0x40014
	s_lshr_b32 s4, ttmp7, 16
	s_add_co_i32 s2, s2, 1
	s_bfe_u32 s6, ttmp6, 0x40008
	s_mul_i32 s5, s4, s2
	s_getreg_b32 s2, hwreg(HW_REG_IB_STS2, 6, 4)
	s_add_co_i32 s6, s6, s5
	s_cmp_eq_u32 s2, 0
	s_mov_b32 s31, 0
	s_cselect_b32 s28, s4, s6
	s_wait_kmcnt 0x0
	s_cmp_ge_u32 s28, s3
	s_cbranch_scc1 .LBB17_15
; %bb.1:
	s_clause 0x5
	s_load_b128 s[20:23], s[0:1], 0x20
	s_load_b256 s[4:11], s[0:1], 0x50
	s_load_b256 s[12:19], s[0:1], 0x30
	s_load_b32 s33, s[0:1], 0x0
	s_load_b64 s[36:37], s[0:1], 0x18
	s_load_b128 s[24:27], s[0:1], 0x8
	s_bfe_u32 s29, ttmp6, 0x4000c
	s_load_b64 s[34:35], s[0:1], 0x70
	s_add_co_i32 s29, s29, 1
	s_wait_xcnt 0x0
	s_and_b32 s0, ttmp6, 15
	s_mul_i32 s1, ttmp9, s29
	s_delay_alu instid0(SALU_CYCLE_1)
	s_add_co_i32 s1, s0, s1
	s_wait_kmcnt 0x0
	s_lshl_b64 s[20:21], s[20:21], 3
	s_lshl_b64 s[38:39], s[8:9], 3
	s_lshl_b64 s[16:17], s[16:17], 3
	v_cmp_gt_i32_e64 s0, s33, v0
	v_mov_b32_e32 v3, 0
	v_xad_u32 v4, v0, -1, s33
	s_cmp_eq_u32 s2, 0
	s_add_nc_u64 s[14:15], s[14:15], s[16:17]
	v_cndmask_b32_e64 v1, 0, v0, s0
	s_cselect_b32 s16, ttmp9, s1
	s_add_nc_u64 s[8:9], s[36:37], s[20:21]
	s_ashr_i32 s17, s16, 31
	s_add_nc_u64 s[20:21], s[6:7], s[38:39]
	v_dual_lshlrev_b32 v2, 3, v1 :: v_dual_lshrrev_b32 v1, 10, v4
	s_mul_u64 s[10:11], s[10:11], s[16:17]
	s_mul_u64 s[16:17], s[18:19], s[16:17]
	s_lshl_b64 s[10:11], s[10:11], 3
	s_delay_alu instid0(VALU_DEP_1)
	v_add_nc_u64_e32 v[6:7], s[20:21], v[2:3]
	v_add_nc_u32_e32 v8, 1, v1
	s_add_nc_u64 s[18:19], s[10:11], s[38:39]
	v_cmp_lt_u32_e64 s1, 0x3ff, v4
	s_add_nc_u64 s[18:19], s[6:7], s[18:19]
	v_mov_b32_e32 v1, v0
	v_and_b32_e32 v14, 0x7ffffe, v8
	v_add_nc_u64_e32 v[4:5], s[18:19], v[2:3]
	v_add_nc_u64_e32 v[6:7], s[10:11], v[6:7]
	s_lshl_b64 s[16:17], s[16:17], 3
	s_mov_b32 s10, s22
	v_lshlrev_b32_e32 v15, 10, v14
	v_cmp_ne_u32_e64 s2, v8, v14
	s_add_nc_u64 s[6:7], s[14:15], s[16:17]
	s_mov_b32 s11, s23
	s_lshl_b64 s[14:15], s[34:35], 3
	s_branch .LBB17_4
.LBB17_2:                               ;   in Loop: Header=BB17_4 Depth=1
	s_or_b32 exec_lo, exec_lo, s38
.LBB17_3:                               ;   in Loop: Header=BB17_4 Depth=1
	s_add_co_i32 s28, s28, 0x10000
	s_delay_alu instid0(SALU_CYCLE_1)
	s_cmp_lt_u32 s28, s3
	s_cbranch_scc0 .LBB17_15
.LBB17_4:                               ; =>This Loop Header: Depth=1
                                        ;     Child Loop BB17_10 Depth 2
                                        ;     Child Loop BB17_14 Depth 2
	s_mov_b32 s29, s31
	s_delay_alu instid0(SALU_CYCLE_1) | instskip(NEXT) | instid1(SALU_CYCLE_1)
	s_mul_u64 s[16:17], s[26:27], s[28:29]
	s_lshl_b64 s[16:17], s[16:17], 3
	s_delay_alu instid0(SALU_CYCLE_1)
	s_add_nc_u64 s[18:19], s[24:25], s[16:17]
	s_load_b64 s[16:17], s[18:19], 0x0
	s_wait_kmcnt 0x0
	s_cmp_neq_f32 s16, 0
	s_wait_xcnt 0x0
	s_cselect_b32 s18, -1, 0
	s_cmp_neq_f32 s17, 0
	s_cselect_b32 s19, -1, 0
	s_delay_alu instid0(SALU_CYCLE_1) | instskip(NEXT) | instid1(SALU_CYCLE_1)
	s_or_b32 s18, s18, s19
	s_and_not1_b32 vcc_lo, exec_lo, s18
	s_cbranch_vccnz .LBB17_3
; %bb.5:                                ;   in Loop: Header=BB17_4 Depth=1
	s_and_saveexec_b32 s38, s0
	s_cbranch_execz .LBB17_2
; %bb.6:                                ;   in Loop: Header=BB17_4 Depth=1
	s_mul_u64 s[18:19], s[4:5], s[28:29]
	s_mul_u64 s[40:41], s[12:13], s[28:29]
	s_lshl_b64 s[18:19], s[18:19], 3
	s_delay_alu instid0(SALU_CYCLE_1)
	s_add_nc_u64 s[18:19], s[6:7], s[18:19]
	s_load_b64 s[36:37], s[18:19], 0x0
	s_wait_kmcnt 0x0
	s_wait_xcnt 0x0
	s_mul_f32 s18, s17, s37
	s_mul_f32 s20, s16, s37
	s_delay_alu instid0(SALU_CYCLE_2) | instskip(NEXT) | instid1(SALU_CYCLE_2)
	s_xor_b32 s18, s18, 0x80000000
	s_fmac_f32 s20, s17, s36
	s_fmac_f32 s18, s16, s36
	s_lshl_b64 s[16:17], s[40:41], 3
	s_delay_alu instid0(SALU_CYCLE_1) | instskip(NEXT) | instid1(SALU_CYCLE_1)
	v_mov_b64_e32 v[8:9], s[20:21]
	v_mov_b64_e32 v[10:11], s[18:19]
	s_add_nc_u64 s[16:17], s[8:9], s[16:17]
	s_mov_b32 s19, 0
	s_and_saveexec_b32 s21, s1
	s_delay_alu instid0(SALU_CYCLE_1)
	s_xor_b32 s39, exec_lo, s21
	s_cbranch_execnz .LBB17_9
; %bb.7:                                ;   in Loop: Header=BB17_4 Depth=1
	s_or_saveexec_b32 s21, s39
	v_mov_b32_e32 v2, v15
	s_xor_b32 exec_lo, exec_lo, s21
	s_cbranch_execnz .LBB17_12
.LBB17_8:                               ;   in Loop: Header=BB17_4 Depth=1
	s_or_b32 exec_lo, exec_lo, s21
	s_delay_alu instid0(SALU_CYCLE_1)
	s_and_b32 exec_lo, exec_lo, s19
	s_cbranch_execz .LBB17_2
	s_branch .LBB17_13
.LBB17_9:                               ;   in Loop: Header=BB17_4 Depth=1
	s_mul_u64 s[36:37], s[34:35], s[28:29]
	v_mov_b32_e32 v10, v14
	v_lshl_add_u64 v[8:9], s[36:37], 3, v[6:7]
	s_mov_b32 s29, 0
	s_mov_b32 s19, s18
	;; [unrolled: 1-line block ×3, first 2 shown]
	s_movk_i32 s36, 0x400
	s_mov_b32 s30, s29
.LBB17_10:                              ;   Parent Loop BB17_4 Depth=1
                                        ; =>  This Inner Loop Header: Depth=2
	v_dual_mov_b32 v13, v3 :: v_dual_bitop2_b32 v12, s36, v1 bitop3:0x54
	v_or_b32_e32 v2, s30, v0
	s_mov_b32 s37, s31
	v_lshl_add_u64 v[18:19], s[30:31], 3, v[8:9]
	v_lshl_add_u64 v[20:21], s[36:37], 3, v[8:9]
	v_mul_u64_e32 v[12:13], s[22:23], v[12:13]
	v_mul_u64_e32 v[16:17], s[10:11], v[2:3]
	s_addk_co_i32 s30, 0x800
	s_addk_co_i32 s36, 0x800
	v_add_nc_u32_e32 v10, -2, v10
	s_delay_alu instid0(VALU_DEP_1) | instskip(SKIP_1) | instid1(VALU_DEP_4)
	v_cmp_eq_u32_e32 vcc_lo, 0, v10
	s_or_b32 s29, vcc_lo, s29
	v_lshl_add_u64 v[12:13], v[12:13], 3, s[16:17]
	s_delay_alu instid0(VALU_DEP_4)
	v_lshl_add_u64 v[16:17], v[16:17], 3, s[16:17]
	s_clause 0x1
	global_load_b64 v[22:23], v[12:13], off
	global_load_b64 v[24:25], v[16:17], off
	s_clause 0x1
	global_load_b64 v[26:27], v[18:19], off
	global_load_b64 v[28:29], v[20:21], off
	s_wait_xcnt 0x3
	v_mov_b64_e32 v[12:13], s[20:21]
	s_wait_xcnt 0x2
	v_mov_b64_e32 v[16:17], s[18:19]
	s_wait_loadcnt 0x2
	v_dual_mov_b32 v31, v22 :: v_dual_mov_b32 v22, v25
	s_wait_loadcnt 0x1
	v_dual_mov_b32 v32, v26 :: v_dual_mov_b32 v30, v24
	s_wait_loadcnt 0x0
	v_dual_mov_b32 v33, v28 :: v_dual_mov_b32 v28, v27
	v_pk_mul_f32 v[24:25], v[12:13], v[22:23]
	v_pk_mul_f32 v[22:23], v[16:17], v[22:23]
	s_delay_alu instid0(VALU_DEP_2) | instskip(NEXT) | instid1(VALU_DEP_2)
	v_pk_fma_f32 v[16:17], v[16:17], v[30:31], v[24:25] neg_lo:[0,0,1] neg_hi:[0,0,1]
	v_pk_fma_f32 v[12:13], v[12:13], v[30:31], v[22:23]
	s_delay_alu instid0(VALU_DEP_2) | instskip(NEXT) | instid1(VALU_DEP_2)
	v_pk_add_f32 v[16:17], v[32:33], v[16:17]
	v_pk_add_f32 v[12:13], v[12:13], v[28:29]
	s_delay_alu instid0(VALU_DEP_1) | instskip(NEXT) | instid1(VALU_DEP_3)
	v_dual_mov_b32 v22, v16 :: v_dual_mov_b32 v23, v12
	v_mov_b32_e32 v12, v17
	s_clause 0x1
	global_store_b64 v[18:19], v[22:23], off
	global_store_b64 v[20:21], v[12:13], off
	s_wait_xcnt 0x0
	s_and_not1_b32 exec_lo, exec_lo, s29
	s_cbranch_execnz .LBB17_10
; %bb.11:                               ;   in Loop: Header=BB17_4 Depth=1
	s_or_b32 exec_lo, exec_lo, s29
	v_mov_b64_e32 v[8:9], s[20:21]
	v_mov_b64_e32 v[10:11], s[18:19]
	s_and_b32 s19, s2, exec_lo
	s_or_saveexec_b32 s21, s39
	v_mov_b32_e32 v2, v15
	s_xor_b32 exec_lo, exec_lo, s21
	s_cbranch_execz .LBB17_8
.LBB17_12:                              ;   in Loop: Header=BB17_4 Depth=1
	v_mov_b32_e32 v2, 0
	s_or_b32 s19, s19, exec_lo
	s_or_b32 exec_lo, exec_lo, s21
	s_delay_alu instid0(SALU_CYCLE_1)
	s_and_b32 exec_lo, exec_lo, s19
	s_cbranch_execz .LBB17_2
.LBB17_13:                              ;   in Loop: Header=BB17_4 Depth=1
	v_lshlrev_b64_e32 v[12:13], 3, v[2:3]
	v_dual_mov_b32 v9, s20 :: v_dual_add_nc_u32 v2, v0, v2
	v_mov_b32_e32 v11, s18
	s_mov_b32 s18, 0
	s_delay_alu instid0(VALU_DEP_3) | instskip(NEXT) | instid1(VALU_DEP_1)
	v_mad_nc_u64_u32 v[12:13], s14, s28, v[12:13]
	v_mad_u32 v13, s15, s28, v13
	s_delay_alu instid0(VALU_DEP_1)
	v_add_nc_u64_e32 v[12:13], v[4:5], v[12:13]
.LBB17_14:                              ;   Parent Loop BB17_4 Depth=1
                                        ; =>  This Inner Loop Header: Depth=2
	v_mul_u64_e32 v[16:17], s[22:23], v[2:3]
	v_add_nc_u32_e32 v2, 0x400, v2
	s_delay_alu instid0(VALU_DEP_1) | instskip(SKIP_1) | instid1(VALU_DEP_3)
	v_cmp_le_i32_e32 vcc_lo, s33, v2
	s_or_b32 s18, vcc_lo, s18
	v_lshl_add_u64 v[16:17], v[16:17], 3, s[16:17]
	global_load_b64 v[18:19], v[16:17], off
	global_load_b64 v[20:21], v[12:13], off
	s_wait_loadcnt 0x1
	s_wait_xcnt 0x1
	v_pk_mul_f32 v[16:17], v[8:9], v[18:19] op_sel:[0,1] op_sel_hi:[1,0]
	s_delay_alu instid0(VALU_DEP_1) | instskip(SKIP_1) | instid1(VALU_DEP_2)
	v_pk_fma_f32 v[22:23], v[10:11], v[18:19], v[16:17]
	v_pk_fma_f32 v[16:17], v[10:11], v[18:19], v[16:17] neg_lo:[0,0,1] neg_hi:[0,0,1]
	v_mov_b32_e32 v17, v23
	s_wait_loadcnt 0x0
	s_delay_alu instid0(VALU_DEP_1)
	v_pk_add_f32 v[16:17], v[20:21], v[16:17]
	global_store_b64 v[12:13], v[16:17], off
	s_wait_xcnt 0x0
	v_add_nc_u64_e32 v[12:13], 0x2000, v[12:13]
	s_and_not1_b32 exec_lo, exec_lo, s18
	s_cbranch_execnz .LBB17_14
	s_branch .LBB17_2
.LBB17_15:
	s_endpgm
	.section	.rodata,"a",@progbits
	.p2align	6, 0x0
	.amdhsa_kernel _ZL19rocblas_sger_kernelILi1024E19rocblas_complex_numIfEPKS1_S3_PS1_EviiT1_lT2_lllS6_lllT3_lmli
		.amdhsa_group_segment_fixed_size 0
		.amdhsa_private_segment_fixed_size 0
		.amdhsa_kernarg_size 124
		.amdhsa_user_sgpr_count 2
		.amdhsa_user_sgpr_dispatch_ptr 0
		.amdhsa_user_sgpr_queue_ptr 0
		.amdhsa_user_sgpr_kernarg_segment_ptr 1
		.amdhsa_user_sgpr_dispatch_id 0
		.amdhsa_user_sgpr_kernarg_preload_length 0
		.amdhsa_user_sgpr_kernarg_preload_offset 0
		.amdhsa_user_sgpr_private_segment_size 0
		.amdhsa_wavefront_size32 1
		.amdhsa_uses_dynamic_stack 0
		.amdhsa_enable_private_segment 0
		.amdhsa_system_sgpr_workgroup_id_x 1
		.amdhsa_system_sgpr_workgroup_id_y 0
		.amdhsa_system_sgpr_workgroup_id_z 1
		.amdhsa_system_sgpr_workgroup_info 0
		.amdhsa_system_vgpr_workitem_id 0
		.amdhsa_next_free_vgpr 34
		.amdhsa_next_free_sgpr 42
		.amdhsa_named_barrier_count 0
		.amdhsa_reserve_vcc 1
		.amdhsa_float_round_mode_32 0
		.amdhsa_float_round_mode_16_64 0
		.amdhsa_float_denorm_mode_32 3
		.amdhsa_float_denorm_mode_16_64 3
		.amdhsa_fp16_overflow 0
		.amdhsa_memory_ordered 1
		.amdhsa_forward_progress 1
		.amdhsa_inst_pref_size 10
		.amdhsa_round_robin_scheduling 0
		.amdhsa_exception_fp_ieee_invalid_op 0
		.amdhsa_exception_fp_denorm_src 0
		.amdhsa_exception_fp_ieee_div_zero 0
		.amdhsa_exception_fp_ieee_overflow 0
		.amdhsa_exception_fp_ieee_underflow 0
		.amdhsa_exception_fp_ieee_inexact 0
		.amdhsa_exception_int_div_zero 0
	.end_amdhsa_kernel
	.section	.text._ZL19rocblas_sger_kernelILi1024E19rocblas_complex_numIfEPKS1_S3_PS1_EviiT1_lT2_lllS6_lllT3_lmli,"axG",@progbits,_ZL19rocblas_sger_kernelILi1024E19rocblas_complex_numIfEPKS1_S3_PS1_EviiT1_lT2_lllS6_lllT3_lmli,comdat
.Lfunc_end17:
	.size	_ZL19rocblas_sger_kernelILi1024E19rocblas_complex_numIfEPKS1_S3_PS1_EviiT1_lT2_lllS6_lllT3_lmli, .Lfunc_end17-_ZL19rocblas_sger_kernelILi1024E19rocblas_complex_numIfEPKS1_S3_PS1_EviiT1_lT2_lllS6_lllT3_lmli
                                        ; -- End function
	.set _ZL19rocblas_sger_kernelILi1024E19rocblas_complex_numIfEPKS1_S3_PS1_EviiT1_lT2_lllS6_lllT3_lmli.num_vgpr, 34
	.set _ZL19rocblas_sger_kernelILi1024E19rocblas_complex_numIfEPKS1_S3_PS1_EviiT1_lT2_lllS6_lllT3_lmli.num_agpr, 0
	.set _ZL19rocblas_sger_kernelILi1024E19rocblas_complex_numIfEPKS1_S3_PS1_EviiT1_lT2_lllS6_lllT3_lmli.numbered_sgpr, 42
	.set _ZL19rocblas_sger_kernelILi1024E19rocblas_complex_numIfEPKS1_S3_PS1_EviiT1_lT2_lllS6_lllT3_lmli.num_named_barrier, 0
	.set _ZL19rocblas_sger_kernelILi1024E19rocblas_complex_numIfEPKS1_S3_PS1_EviiT1_lT2_lllS6_lllT3_lmli.private_seg_size, 0
	.set _ZL19rocblas_sger_kernelILi1024E19rocblas_complex_numIfEPKS1_S3_PS1_EviiT1_lT2_lllS6_lllT3_lmli.uses_vcc, 1
	.set _ZL19rocblas_sger_kernelILi1024E19rocblas_complex_numIfEPKS1_S3_PS1_EviiT1_lT2_lllS6_lllT3_lmli.uses_flat_scratch, 0
	.set _ZL19rocblas_sger_kernelILi1024E19rocblas_complex_numIfEPKS1_S3_PS1_EviiT1_lT2_lllS6_lllT3_lmli.has_dyn_sized_stack, 0
	.set _ZL19rocblas_sger_kernelILi1024E19rocblas_complex_numIfEPKS1_S3_PS1_EviiT1_lT2_lllS6_lllT3_lmli.has_recursion, 0
	.set _ZL19rocblas_sger_kernelILi1024E19rocblas_complex_numIfEPKS1_S3_PS1_EviiT1_lT2_lllS6_lllT3_lmli.has_indirect_call, 0
	.section	.AMDGPU.csdata,"",@progbits
; Kernel info:
; codeLenInByte = 1188
; TotalNumSgprs: 44
; NumVgprs: 34
; ScratchSize: 0
; MemoryBound: 0
; FloatMode: 240
; IeeeMode: 1
; LDSByteSize: 0 bytes/workgroup (compile time only)
; SGPRBlocks: 0
; VGPRBlocks: 2
; NumSGPRsForWavesPerEU: 44
; NumVGPRsForWavesPerEU: 34
; NamedBarCnt: 0
; Occupancy: 16
; WaveLimiterHint : 0
; COMPUTE_PGM_RSRC2:SCRATCH_EN: 0
; COMPUTE_PGM_RSRC2:USER_SGPR: 2
; COMPUTE_PGM_RSRC2:TRAP_HANDLER: 0
; COMPUTE_PGM_RSRC2:TGID_X_EN: 1
; COMPUTE_PGM_RSRC2:TGID_Y_EN: 0
; COMPUTE_PGM_RSRC2:TGID_Z_EN: 1
; COMPUTE_PGM_RSRC2:TIDIG_COMP_CNT: 0
	.section	.text._ZL19rocblas_sger_kernelILi1024E19rocblas_complex_numIfES1_PKS1_PS1_EviiT1_lT2_lllS6_lllT3_lmli,"axG",@progbits,_ZL19rocblas_sger_kernelILi1024E19rocblas_complex_numIfES1_PKS1_PS1_EviiT1_lT2_lllS6_lllT3_lmli,comdat
	.globl	_ZL19rocblas_sger_kernelILi1024E19rocblas_complex_numIfES1_PKS1_PS1_EviiT1_lT2_lllS6_lllT3_lmli ; -- Begin function _ZL19rocblas_sger_kernelILi1024E19rocblas_complex_numIfES1_PKS1_PS1_EviiT1_lT2_lllS6_lllT3_lmli
	.p2align	8
	.type	_ZL19rocblas_sger_kernelILi1024E19rocblas_complex_numIfES1_PKS1_PS1_EviiT1_lT2_lllS6_lllT3_lmli,@function
_ZL19rocblas_sger_kernelILi1024E19rocblas_complex_numIfES1_PKS1_PS1_EviiT1_lT2_lllS6_lllT3_lmli: ; @_ZL19rocblas_sger_kernelILi1024E19rocblas_complex_numIfES1_PKS1_PS1_EviiT1_lT2_lllS6_lllT3_lmli
; %bb.0:
	s_load_b32 s3, s[0:1], 0x78
	s_bfe_u32 s2, ttmp6, 0x40014
	s_lshr_b32 s4, ttmp7, 16
	s_add_co_i32 s2, s2, 1
	s_bfe_u32 s6, ttmp6, 0x40008
	s_mul_i32 s5, s4, s2
	s_getreg_b32 s2, hwreg(HW_REG_IB_STS2, 6, 4)
	s_add_co_i32 s6, s6, s5
	s_cmp_eq_u32 s2, 0
	s_mov_b32 s27, 0
	s_cselect_b32 s24, s4, s6
	s_wait_kmcnt 0x0
	s_cmp_ge_u32 s24, s3
	s_cbranch_scc1 .LBB18_15
; %bb.1:
	s_clause 0x6
	s_load_b128 s[20:23], s[0:1], 0x20
	s_load_b256 s[4:11], s[0:1], 0x50
	s_load_b256 s[12:19], s[0:1], 0x30
	s_load_b32 s33, s[0:1], 0x0
	s_load_b64 s[28:29], s[0:1], 0x8
	s_load_b64 s[34:35], s[0:1], 0x18
	s_load_b64 s[30:31], s[0:1], 0x70
	s_wait_kmcnt 0x0
	s_lshl_b64 s[20:21], s[20:21], 3
	s_lshl_b64 s[38:39], s[8:9], 3
	;; [unrolled: 1-line block ×3, first 2 shown]
	v_cmp_gt_i32_e64 s0, s33, v0
	s_cmp_neq_f32 s28, 0
	s_add_nc_u64 s[14:15], s[14:15], s[16:17]
	v_mov_b32_e32 v3, 0
	v_xad_u32 v4, v0, -1, s33
	s_cselect_b32 s1, -1, 0
	s_cmp_neq_f32 s29, 0
	v_cndmask_b32_e64 v1, 0, v0, s0
	s_add_nc_u64 s[8:9], s[34:35], s[20:21]
	s_add_nc_u64 s[20:21], s[6:7], s[38:39]
	s_cselect_b32 s16, -1, 0
	s_bfe_u32 s17, ttmp6, 0x4000c
	s_and_b32 s25, ttmp6, 15
	s_add_co_i32 s17, s17, 1
	s_or_b32 s36, s1, s16
	s_mul_i32 s17, ttmp9, s17
	v_dual_lshlrev_b32 v2, 3, v1 :: v_dual_lshrrev_b32 v1, 10, v4
	s_add_co_i32 s25, s25, s17
	s_cmp_eq_u32 s2, 0
	v_cmp_lt_u32_e64 s1, 0x3ff, v4
	s_cselect_b32 s16, ttmp9, s25
	v_add_nc_u32_e32 v8, 1, v1
	s_ashr_i32 s17, s16, 31
	v_add_nc_u64_e32 v[4:5], s[20:21], v[2:3]
	s_mul_u64 s[10:11], s[10:11], s[16:17]
	s_mul_u64 s[16:17], s[18:19], s[16:17]
	s_lshl_b64 s[18:19], s[10:11], 3
	s_lshl_b64 s[10:11], s[16:17], 3
	v_and_b32_e32 v14, 0x7ffffe, v8
	s_add_nc_u64 s[10:11], s[14:15], s[10:11]
	s_add_nc_u64 s[14:15], s[18:19], s[38:39]
	v_add_nc_u64_e32 v[4:5], s[18:19], v[4:5]
	s_add_nc_u64 s[6:7], s[6:7], s[14:15]
	v_lshlrev_b32_e32 v15, 10, v14
	v_add_nc_u64_e32 v[6:7], s[6:7], v[2:3]
	v_mov_b32_e32 v1, v0
	v_cmp_ne_u32_e64 s2, v8, v14
	s_mov_b32 s6, s22
	s_mov_b32 s7, s23
	s_lshl_b64 s[14:15], s[30:31], 3
	s_branch .LBB18_4
.LBB18_2:                               ;   in Loop: Header=BB18_4 Depth=1
	s_or_b32 exec_lo, exec_lo, s37
.LBB18_3:                               ;   in Loop: Header=BB18_4 Depth=1
	s_add_co_i32 s24, s24, 0x10000
	s_delay_alu instid0(SALU_CYCLE_1)
	s_cmp_lt_u32 s24, s3
	s_cbranch_scc0 .LBB18_15
.LBB18_4:                               ; =>This Loop Header: Depth=1
                                        ;     Child Loop BB18_10 Depth 2
                                        ;     Child Loop BB18_14 Depth 2
	s_and_not1_b32 vcc_lo, exec_lo, s36
	s_cbranch_vccnz .LBB18_3
; %bb.5:                                ;   in Loop: Header=BB18_4 Depth=1
	s_and_saveexec_b32 s37, s0
	s_cbranch_execz .LBB18_2
; %bb.6:                                ;   in Loop: Header=BB18_4 Depth=1
	s_mov_b32 s25, s27
	s_delay_alu instid0(SALU_CYCLE_1) | instskip(NEXT) | instid1(SALU_CYCLE_1)
	s_mul_u64 s[16:17], s[4:5], s[24:25]
	s_lshl_b64 s[16:17], s[16:17], 3
	s_delay_alu instid0(SALU_CYCLE_1) | instskip(SKIP_3) | instid1(SALU_CYCLE_1)
	s_add_nc_u64 s[16:17], s[10:11], s[16:17]
	s_load_b64 s[34:35], s[16:17], 0x0
	s_wait_xcnt 0x0
	s_mul_u64 s[16:17], s[12:13], s[24:25]
	s_lshl_b64 s[16:17], s[16:17], 3
	s_delay_alu instid0(SALU_CYCLE_1) | instskip(SKIP_3) | instid1(SALU_CYCLE_2)
	s_add_nc_u64 s[16:17], s[8:9], s[16:17]
	s_wait_kmcnt 0x0
	s_mul_f32 s18, s29, s35
	s_mul_f32 s20, s28, s35
	s_xor_b32 s18, s18, 0x80000000
	s_delay_alu instid0(SALU_CYCLE_2) | instskip(SKIP_1) | instid1(SALU_CYCLE_2)
	s_fmac_f32 s20, s29, s34
	s_fmac_f32 s18, s28, s34
	v_mov_b64_e32 v[8:9], s[20:21]
	s_delay_alu instid0(SALU_CYCLE_2) | instskip(SKIP_2) | instid1(SALU_CYCLE_1)
	v_mov_b64_e32 v[10:11], s[18:19]
	s_mov_b32 s19, 0
	s_and_saveexec_b32 s21, s1
	s_xor_b32 s38, exec_lo, s21
	s_cbranch_execnz .LBB18_9
; %bb.7:                                ;   in Loop: Header=BB18_4 Depth=1
	s_or_saveexec_b32 s21, s38
	v_mov_b32_e32 v2, v15
	s_xor_b32 exec_lo, exec_lo, s21
	s_cbranch_execnz .LBB18_12
.LBB18_8:                               ;   in Loop: Header=BB18_4 Depth=1
	s_or_b32 exec_lo, exec_lo, s21
	s_delay_alu instid0(SALU_CYCLE_1)
	s_and_b32 exec_lo, exec_lo, s19
	s_cbranch_execz .LBB18_2
	s_branch .LBB18_13
.LBB18_9:                               ;   in Loop: Header=BB18_4 Depth=1
	s_mul_u64 s[34:35], s[30:31], s[24:25]
	v_mov_b32_e32 v10, v14
	v_lshl_add_u64 v[8:9], s[34:35], 3, v[4:5]
	s_mov_b32 s25, 0
	s_mov_b32 s19, s18
	;; [unrolled: 1-line block ×3, first 2 shown]
	s_movk_i32 s34, 0x400
	s_mov_b32 s26, s25
.LBB18_10:                              ;   Parent Loop BB18_4 Depth=1
                                        ; =>  This Inner Loop Header: Depth=2
	v_dual_mov_b32 v13, v3 :: v_dual_bitop2_b32 v12, s34, v1 bitop3:0x54
	v_or_b32_e32 v2, s26, v0
	s_mov_b32 s35, s27
	v_lshl_add_u64 v[18:19], s[26:27], 3, v[8:9]
	v_lshl_add_u64 v[20:21], s[34:35], 3, v[8:9]
	v_mul_u64_e32 v[12:13], s[22:23], v[12:13]
	v_mul_u64_e32 v[16:17], s[6:7], v[2:3]
	s_addk_co_i32 s26, 0x800
	s_addk_co_i32 s34, 0x800
	v_add_nc_u32_e32 v10, -2, v10
	s_delay_alu instid0(VALU_DEP_1) | instskip(SKIP_1) | instid1(VALU_DEP_4)
	v_cmp_eq_u32_e32 vcc_lo, 0, v10
	s_or_b32 s25, vcc_lo, s25
	v_lshl_add_u64 v[12:13], v[12:13], 3, s[16:17]
	s_delay_alu instid0(VALU_DEP_4)
	v_lshl_add_u64 v[16:17], v[16:17], 3, s[16:17]
	s_clause 0x1
	global_load_b64 v[22:23], v[12:13], off
	global_load_b64 v[24:25], v[16:17], off
	s_clause 0x1
	global_load_b64 v[26:27], v[18:19], off
	global_load_b64 v[28:29], v[20:21], off
	s_wait_xcnt 0x3
	v_mov_b64_e32 v[12:13], s[20:21]
	s_wait_xcnt 0x2
	v_mov_b64_e32 v[16:17], s[18:19]
	s_wait_loadcnt 0x2
	v_dual_mov_b32 v31, v22 :: v_dual_mov_b32 v22, v25
	s_wait_loadcnt 0x1
	v_dual_mov_b32 v32, v26 :: v_dual_mov_b32 v30, v24
	;; [unrolled: 2-line block ×3, first 2 shown]
	v_pk_mul_f32 v[24:25], v[12:13], v[22:23]
	v_pk_mul_f32 v[22:23], v[16:17], v[22:23]
	s_delay_alu instid0(VALU_DEP_2) | instskip(NEXT) | instid1(VALU_DEP_2)
	v_pk_fma_f32 v[16:17], v[16:17], v[30:31], v[24:25] neg_lo:[0,0,1] neg_hi:[0,0,1]
	v_pk_fma_f32 v[12:13], v[12:13], v[30:31], v[22:23]
	s_delay_alu instid0(VALU_DEP_2) | instskip(NEXT) | instid1(VALU_DEP_2)
	v_pk_add_f32 v[16:17], v[32:33], v[16:17]
	v_pk_add_f32 v[12:13], v[12:13], v[28:29]
	s_delay_alu instid0(VALU_DEP_1) | instskip(NEXT) | instid1(VALU_DEP_3)
	v_dual_mov_b32 v22, v16 :: v_dual_mov_b32 v23, v12
	v_mov_b32_e32 v12, v17
	s_clause 0x1
	global_store_b64 v[18:19], v[22:23], off
	global_store_b64 v[20:21], v[12:13], off
	s_wait_xcnt 0x0
	s_and_not1_b32 exec_lo, exec_lo, s25
	s_cbranch_execnz .LBB18_10
; %bb.11:                               ;   in Loop: Header=BB18_4 Depth=1
	s_or_b32 exec_lo, exec_lo, s25
	v_mov_b64_e32 v[8:9], s[20:21]
	v_mov_b64_e32 v[10:11], s[18:19]
	s_and_b32 s19, s2, exec_lo
	s_or_saveexec_b32 s21, s38
	v_mov_b32_e32 v2, v15
	s_xor_b32 exec_lo, exec_lo, s21
	s_cbranch_execz .LBB18_8
.LBB18_12:                              ;   in Loop: Header=BB18_4 Depth=1
	v_mov_b32_e32 v2, 0
	s_or_b32 s19, s19, exec_lo
	s_or_b32 exec_lo, exec_lo, s21
	s_delay_alu instid0(SALU_CYCLE_1)
	s_and_b32 exec_lo, exec_lo, s19
	s_cbranch_execz .LBB18_2
.LBB18_13:                              ;   in Loop: Header=BB18_4 Depth=1
	v_lshlrev_b64_e32 v[12:13], 3, v[2:3]
	v_dual_mov_b32 v9, s20 :: v_dual_add_nc_u32 v2, v0, v2
	v_mov_b32_e32 v11, s18
	s_mov_b32 s18, 0
	s_delay_alu instid0(VALU_DEP_3) | instskip(NEXT) | instid1(VALU_DEP_1)
	v_mad_nc_u64_u32 v[12:13], s14, s24, v[12:13]
	v_mad_u32 v13, s15, s24, v13
	s_delay_alu instid0(VALU_DEP_1)
	v_add_nc_u64_e32 v[12:13], v[6:7], v[12:13]
.LBB18_14:                              ;   Parent Loop BB18_4 Depth=1
                                        ; =>  This Inner Loop Header: Depth=2
	v_mul_u64_e32 v[16:17], s[22:23], v[2:3]
	v_add_nc_u32_e32 v2, 0x400, v2
	s_delay_alu instid0(VALU_DEP_1) | instskip(SKIP_1) | instid1(VALU_DEP_3)
	v_cmp_le_i32_e32 vcc_lo, s33, v2
	s_or_b32 s18, vcc_lo, s18
	v_lshl_add_u64 v[16:17], v[16:17], 3, s[16:17]
	global_load_b64 v[18:19], v[16:17], off
	global_load_b64 v[20:21], v[12:13], off
	s_wait_loadcnt 0x1
	s_wait_xcnt 0x1
	v_pk_mul_f32 v[16:17], v[8:9], v[18:19] op_sel:[0,1] op_sel_hi:[1,0]
	s_delay_alu instid0(VALU_DEP_1) | instskip(SKIP_1) | instid1(VALU_DEP_2)
	v_pk_fma_f32 v[22:23], v[10:11], v[18:19], v[16:17]
	v_pk_fma_f32 v[16:17], v[10:11], v[18:19], v[16:17] neg_lo:[0,0,1] neg_hi:[0,0,1]
	v_mov_b32_e32 v17, v23
	s_wait_loadcnt 0x0
	s_delay_alu instid0(VALU_DEP_1)
	v_pk_add_f32 v[16:17], v[20:21], v[16:17]
	global_store_b64 v[12:13], v[16:17], off
	s_wait_xcnt 0x0
	v_add_nc_u64_e32 v[12:13], 0x2000, v[12:13]
	s_and_not1_b32 exec_lo, exec_lo, s18
	s_cbranch_execnz .LBB18_14
	s_branch .LBB18_2
.LBB18_15:
	s_endpgm
	.section	.rodata,"a",@progbits
	.p2align	6, 0x0
	.amdhsa_kernel _ZL19rocblas_sger_kernelILi1024E19rocblas_complex_numIfES1_PKS1_PS1_EviiT1_lT2_lllS6_lllT3_lmli
		.amdhsa_group_segment_fixed_size 0
		.amdhsa_private_segment_fixed_size 0
		.amdhsa_kernarg_size 124
		.amdhsa_user_sgpr_count 2
		.amdhsa_user_sgpr_dispatch_ptr 0
		.amdhsa_user_sgpr_queue_ptr 0
		.amdhsa_user_sgpr_kernarg_segment_ptr 1
		.amdhsa_user_sgpr_dispatch_id 0
		.amdhsa_user_sgpr_kernarg_preload_length 0
		.amdhsa_user_sgpr_kernarg_preload_offset 0
		.amdhsa_user_sgpr_private_segment_size 0
		.amdhsa_wavefront_size32 1
		.amdhsa_uses_dynamic_stack 0
		.amdhsa_enable_private_segment 0
		.amdhsa_system_sgpr_workgroup_id_x 1
		.amdhsa_system_sgpr_workgroup_id_y 0
		.amdhsa_system_sgpr_workgroup_id_z 1
		.amdhsa_system_sgpr_workgroup_info 0
		.amdhsa_system_vgpr_workitem_id 0
		.amdhsa_next_free_vgpr 34
		.amdhsa_next_free_sgpr 40
		.amdhsa_named_barrier_count 0
		.amdhsa_reserve_vcc 1
		.amdhsa_float_round_mode_32 0
		.amdhsa_float_round_mode_16_64 0
		.amdhsa_float_denorm_mode_32 3
		.amdhsa_float_denorm_mode_16_64 3
		.amdhsa_fp16_overflow 0
		.amdhsa_memory_ordered 1
		.amdhsa_forward_progress 1
		.amdhsa_inst_pref_size 9
		.amdhsa_round_robin_scheduling 0
		.amdhsa_exception_fp_ieee_invalid_op 0
		.amdhsa_exception_fp_denorm_src 0
		.amdhsa_exception_fp_ieee_div_zero 0
		.amdhsa_exception_fp_ieee_overflow 0
		.amdhsa_exception_fp_ieee_underflow 0
		.amdhsa_exception_fp_ieee_inexact 0
		.amdhsa_exception_int_div_zero 0
	.end_amdhsa_kernel
	.section	.text._ZL19rocblas_sger_kernelILi1024E19rocblas_complex_numIfES1_PKS1_PS1_EviiT1_lT2_lllS6_lllT3_lmli,"axG",@progbits,_ZL19rocblas_sger_kernelILi1024E19rocblas_complex_numIfES1_PKS1_PS1_EviiT1_lT2_lllS6_lllT3_lmli,comdat
.Lfunc_end18:
	.size	_ZL19rocblas_sger_kernelILi1024E19rocblas_complex_numIfES1_PKS1_PS1_EviiT1_lT2_lllS6_lllT3_lmli, .Lfunc_end18-_ZL19rocblas_sger_kernelILi1024E19rocblas_complex_numIfES1_PKS1_PS1_EviiT1_lT2_lllS6_lllT3_lmli
                                        ; -- End function
	.set _ZL19rocblas_sger_kernelILi1024E19rocblas_complex_numIfES1_PKS1_PS1_EviiT1_lT2_lllS6_lllT3_lmli.num_vgpr, 34
	.set _ZL19rocblas_sger_kernelILi1024E19rocblas_complex_numIfES1_PKS1_PS1_EviiT1_lT2_lllS6_lllT3_lmli.num_agpr, 0
	.set _ZL19rocblas_sger_kernelILi1024E19rocblas_complex_numIfES1_PKS1_PS1_EviiT1_lT2_lllS6_lllT3_lmli.numbered_sgpr, 40
	.set _ZL19rocblas_sger_kernelILi1024E19rocblas_complex_numIfES1_PKS1_PS1_EviiT1_lT2_lllS6_lllT3_lmli.num_named_barrier, 0
	.set _ZL19rocblas_sger_kernelILi1024E19rocblas_complex_numIfES1_PKS1_PS1_EviiT1_lT2_lllS6_lllT3_lmli.private_seg_size, 0
	.set _ZL19rocblas_sger_kernelILi1024E19rocblas_complex_numIfES1_PKS1_PS1_EviiT1_lT2_lllS6_lllT3_lmli.uses_vcc, 1
	.set _ZL19rocblas_sger_kernelILi1024E19rocblas_complex_numIfES1_PKS1_PS1_EviiT1_lT2_lllS6_lllT3_lmli.uses_flat_scratch, 0
	.set _ZL19rocblas_sger_kernelILi1024E19rocblas_complex_numIfES1_PKS1_PS1_EviiT1_lT2_lllS6_lllT3_lmli.has_dyn_sized_stack, 0
	.set _ZL19rocblas_sger_kernelILi1024E19rocblas_complex_numIfES1_PKS1_PS1_EviiT1_lT2_lllS6_lllT3_lmli.has_recursion, 0
	.set _ZL19rocblas_sger_kernelILi1024E19rocblas_complex_numIfES1_PKS1_PS1_EviiT1_lT2_lllS6_lllT3_lmli.has_indirect_call, 0
	.section	.AMDGPU.csdata,"",@progbits
; Kernel info:
; codeLenInByte = 1140
; TotalNumSgprs: 42
; NumVgprs: 34
; ScratchSize: 0
; MemoryBound: 0
; FloatMode: 240
; IeeeMode: 1
; LDSByteSize: 0 bytes/workgroup (compile time only)
; SGPRBlocks: 0
; VGPRBlocks: 2
; NumSGPRsForWavesPerEU: 42
; NumVGPRsForWavesPerEU: 34
; NamedBarCnt: 0
; Occupancy: 16
; WaveLimiterHint : 1
; COMPUTE_PGM_RSRC2:SCRATCH_EN: 0
; COMPUTE_PGM_RSRC2:USER_SGPR: 2
; COMPUTE_PGM_RSRC2:TRAP_HANDLER: 0
; COMPUTE_PGM_RSRC2:TGID_X_EN: 1
; COMPUTE_PGM_RSRC2:TGID_Y_EN: 0
; COMPUTE_PGM_RSRC2:TGID_Z_EN: 1
; COMPUTE_PGM_RSRC2:TIDIG_COMP_CNT: 0
	.section	.text._ZL18rocblas_ger_kernelILi32ELi32ELi2ELb0E19rocblas_complex_numIfEPKS1_S3_PS1_EviiT4_lT5_lllS6_lllT6_lmli,"axG",@progbits,_ZL18rocblas_ger_kernelILi32ELi32ELi2ELb0E19rocblas_complex_numIfEPKS1_S3_PS1_EviiT4_lT5_lllS6_lllT6_lmli,comdat
	.globl	_ZL18rocblas_ger_kernelILi32ELi32ELi2ELb0E19rocblas_complex_numIfEPKS1_S3_PS1_EviiT4_lT5_lllS6_lllT6_lmli ; -- Begin function _ZL18rocblas_ger_kernelILi32ELi32ELi2ELb0E19rocblas_complex_numIfEPKS1_S3_PS1_EviiT4_lT5_lllS6_lllT6_lmli
	.p2align	8
	.type	_ZL18rocblas_ger_kernelILi32ELi32ELi2ELb0E19rocblas_complex_numIfEPKS1_S3_PS1_EviiT4_lT5_lllS6_lllT6_lmli,@function
_ZL18rocblas_ger_kernelILi32ELi32ELi2ELb0E19rocblas_complex_numIfEPKS1_S3_PS1_EviiT4_lT5_lllS6_lllT6_lmli: ; @_ZL18rocblas_ger_kernelILi32ELi32ELi2ELb0E19rocblas_complex_numIfEPKS1_S3_PS1_EviiT4_lT5_lllS6_lllT6_lmli
; %bb.0:
	s_load_b32 s33, s[0:1], 0x78
	s_bfe_u32 s2, ttmp6, 0x40014
	s_lshr_b32 s3, ttmp7, 16
	s_add_co_i32 s2, s2, 1
	s_bfe_u32 s5, ttmp6, 0x40008
	s_mul_i32 s4, s3, s2
	s_getreg_b32 s2, hwreg(HW_REG_IB_STS2, 6, 4)
	s_add_co_i32 s5, s5, s4
	s_cmp_eq_u32 s2, 0
	s_mov_b32 s29, 0
	s_cselect_b32 s28, s3, s5
	s_wait_kmcnt 0x0
	s_cmp_ge_u32 s28, s33
	s_cbranch_scc1 .LBB19_18
; %bb.1:
	s_clause 0x1
	s_load_b64 s[30:31], s[0:1], 0x0
	s_load_b128 s[24:27], s[0:1], 0x8
	s_bfe_u32 s6, ttmp6, 0x4000c
	s_and_b32 s5, ttmp6, 15
	s_add_co_i32 s6, s6, 1
	s_load_b256 s[16:23], s[0:1], 0x30
	s_mul_i32 s6, ttmp9, s6
	v_bfe_u32 v17, v0, 10, 10
	s_add_co_i32 s5, s5, s6
	s_load_b256 s[8:15], s[0:1], 0x50
	v_and_b32_e32 v18, 0x3ff, v0
	s_delay_alu instid0(VALU_DEP_2) | instskip(SKIP_2) | instid1(SALU_CYCLE_1)
	v_lshlrev_b32_e32 v16, 4, v17
	s_wait_kmcnt 0x0
	s_add_co_i32 s3, s30, -1
	s_ashr_i32 s4, s3, 31
	s_delay_alu instid0(SALU_CYCLE_1) | instskip(NEXT) | instid1(SALU_CYCLE_1)
	s_lshr_b32 s4, s4, 27
	s_add_co_i32 s3, s3, s4
	s_delay_alu instid0(SALU_CYCLE_1) | instskip(NEXT) | instid1(SALU_CYCLE_1)
	s_ashr_i32 s3, s3, 5
	s_add_co_i32 s34, s3, 1
	s_not_b32 s3, s3
	s_cvt_f32_u32 s4, s34
	s_delay_alu instid0(SALU_CYCLE_3) | instskip(SKIP_1) | instid1(TRANS32_DEP_1)
	v_rcp_iflag_f32_e32 v1, s4
	v_nop
	v_readfirstlane_b32 s4, v1
	v_lshlrev_b32_e32 v1, 1, v17
	s_mul_f32 s4, s4, 0x4f7ffffe
	s_delay_alu instid0(SALU_CYCLE_3) | instskip(NEXT) | instid1(SALU_CYCLE_3)
	s_cvt_u32_f32 s4, s4
	s_mul_i32 s3, s3, s4
	s_delay_alu instid0(SALU_CYCLE_1) | instskip(NEXT) | instid1(SALU_CYCLE_1)
	s_mul_hi_u32 s3, s4, s3
	s_add_co_i32 s4, s4, s3
	s_cmp_eq_u32 s2, 0
	s_cselect_b32 s2, ttmp9, s5
	s_delay_alu instid0(SALU_CYCLE_1) | instskip(SKIP_4) | instid1(SALU_CYCLE_1)
	s_mul_hi_u32 s3, s2, s4
	s_load_b128 s[4:7], s[0:1], 0x20
	s_mul_i32 s35, s3, s34
	s_add_co_i32 s36, s3, 1
	s_sub_co_i32 s35, s2, s35
	s_sub_co_i32 s37, s35, s34
	s_cmp_ge_u32 s35, s34
	s_cselect_b32 s3, s36, s3
	s_cselect_b32 s35, s37, s35
	s_add_co_i32 s36, s3, 1
	s_cmp_ge_u32 s35, s34
	s_cselect_b32 s3, s36, s3
	s_lshl_b64 s[12:13], s[12:13], 3
	s_mul_i32 s34, s3, s34
	v_lshl_add_u32 v6, s3, 6, v1
	s_sub_co_i32 s2, s2, s34
	s_add_nc_u64 s[10:11], s[10:11], s[12:13]
	v_lshl_add_u32 v8, s2, 5, v18
	s_delay_alu instid0(VALU_DEP_2) | instskip(SKIP_1) | instid1(VALU_DEP_3)
	v_dual_mov_b32 v1, 0 :: v_dual_bitop2_b32 v0, v6, v18 bitop3:0x54
	v_dual_ashrrev_i32 v7, 31, v6 :: v_dual_bitop2_b32 v12, 1, v6 bitop3:0x54
	v_ashrrev_i32_e32 v9, 31, v8
	s_load_b64 s[2:3], s[0:1], 0x18
	s_delay_alu instid0(VALU_DEP_3) | instskip(NEXT) | instid1(VALU_DEP_3)
	v_mul_u64_e32 v[10:11], s[22:23], v[0:1]
	v_ashrrev_i32_e32 v13, 31, v12
	v_mul_u64_e32 v[2:3], s[14:15], v[6:7]
	s_wait_kmcnt 0x0
	v_mul_u64_e32 v[14:15], s[6:7], v[8:9]
	v_lshlrev_b32_e32 v7, 3, v18
	s_load_b64 s[6:7], s[0:1], 0x70
	v_mul_u64_e32 v[4:5], s[14:15], v[12:13]
	s_lshl_b64 s[14:15], s[20:21], 3
	s_lshl_b64 s[4:5], s[4:5], 3
	s_add_nc_u64 s[12:13], s[18:19], s[14:15]
	s_wait_xcnt 0x0
	v_cmp_eq_u32_e64 s0, 0, v17
	v_cmp_gt_u32_e64 s1, 2, v18
	v_add_nc_u32_e32 v17, 0x200, v7
	v_add_nc_u32_e32 v18, v16, v7
	s_add_nc_u64 s[14:15], s[2:3], s[4:5]
	v_cmp_gt_i32_e64 s2, s31, v6
	v_cmp_gt_i32_e64 s3, s30, v8
	v_cmp_gt_u32_e64 s4, s31, v0
	v_lshl_add_u64 v[6:7], v[8:9], 3, s[10:11]
	v_cmp_gt_i32_e64 s5, s31, v12
	v_lshl_add_u64 v[8:9], v[10:11], 3, s[12:13]
	v_lshl_add_u64 v[10:11], v[14:15], 3, s[14:15]
	s_branch .LBB19_4
.LBB19_2:                               ;   in Loop: Header=BB19_4 Depth=1
	s_wait_xcnt 0x0
	s_or_b32 exec_lo, exec_lo, s10
.LBB19_3:                               ;   in Loop: Header=BB19_4 Depth=1
	s_add_co_i32 s28, s28, 0x10000
	s_delay_alu instid0(SALU_CYCLE_1)
	s_cmp_lt_u32 s28, s33
	s_cbranch_scc0 .LBB19_18
.LBB19_4:                               ; =>This Inner Loop Header: Depth=1
	s_wait_xcnt 0x0
	s_mul_u64 s[10:11], s[26:27], s[28:29]
	s_delay_alu instid0(SALU_CYCLE_1) | instskip(NEXT) | instid1(SALU_CYCLE_1)
	s_lshl_b64 s[10:11], s[10:11], 3
	s_add_nc_u64 s[10:11], s[24:25], s[10:11]
	global_load_b64 v[12:13], v1, s[10:11]
	s_wait_loadcnt 0x0
	v_or_b32_e32 v0, v12, v13
	s_delay_alu instid0(VALU_DEP_1) | instskip(NEXT) | instid1(VALU_DEP_1)
	v_and_b32_e32 v0, 0x7fffffff, v0
	v_cmp_eq_u32_e32 vcc_lo, 0, v0
	s_cbranch_vccnz .LBB19_3
; %bb.5:                                ;   in Loop: Header=BB19_4 Depth=1
	s_wait_xcnt 0x0
	s_and_saveexec_b32 s10, s0
	s_cbranch_execz .LBB19_9
; %bb.6:                                ;   in Loop: Header=BB19_4 Depth=1
	v_dual_mov_b32 v14, 0 :: v_dual_mov_b32 v15, 0
	s_and_saveexec_b32 s11, s3
	s_cbranch_execz .LBB19_8
; %bb.7:                                ;   in Loop: Header=BB19_4 Depth=1
	s_mul_u64 s[12:13], s[16:17], s[28:29]
	s_delay_alu instid0(SALU_CYCLE_1)
	v_lshl_add_u64 v[14:15], s[12:13], 3, v[10:11]
	global_load_b64 v[14:15], v[14:15], off
.LBB19_8:                               ;   in Loop: Header=BB19_4 Depth=1
	s_wait_xcnt 0x0
	s_or_b32 exec_lo, exec_lo, s11
	s_wait_loadcnt 0x0
	ds_store_b64 v17, v[14:15]
.LBB19_9:                               ;   in Loop: Header=BB19_4 Depth=1
	s_or_b32 exec_lo, exec_lo, s10
	s_and_saveexec_b32 s10, s1
	s_cbranch_execz .LBB19_13
; %bb.10:                               ;   in Loop: Header=BB19_4 Depth=1
	v_dual_mov_b32 v14, 0 :: v_dual_mov_b32 v15, 0
	s_and_saveexec_b32 s11, s4
	s_cbranch_execz .LBB19_12
; %bb.11:                               ;   in Loop: Header=BB19_4 Depth=1
	s_mul_u64 s[12:13], s[8:9], s[28:29]
	s_delay_alu instid0(SALU_CYCLE_1)
	v_lshl_add_u64 v[14:15], s[12:13], 3, v[8:9]
	global_load_b64 v[14:15], v[14:15], off
.LBB19_12:                              ;   in Loop: Header=BB19_4 Depth=1
	s_wait_xcnt 0x0
	s_or_b32 exec_lo, exec_lo, s11
	s_wait_loadcnt 0x0
	ds_store_b64 v18, v[14:15]
.LBB19_13:                              ;   in Loop: Header=BB19_4 Depth=1
	s_or_b32 exec_lo, exec_lo, s10
	s_wait_dscnt 0x0
	s_barrier_signal -1
	s_barrier_wait -1
	s_and_saveexec_b32 s10, s3
	s_cbranch_execz .LBB19_2
; %bb.14:                               ;   in Loop: Header=BB19_4 Depth=1
	ds_load_b64 v[14:15], v17
	s_wait_kmcnt 0x0
	s_mul_u64 s[12:13], s[6:7], s[28:29]
	s_wait_dscnt 0x0
	v_dual_mul_f32 v19, v15, v13 :: v_dual_mul_f32 v0, v15, v12
	s_delay_alu instid0(VALU_DEP_1)
	v_dual_fma_f32 v12, v14, v12, -v19 :: v_dual_fmac_f32 v0, v14, v13
	v_lshl_add_u64 v[14:15], s[12:13], 3, v[6:7]
	s_and_saveexec_b32 s11, s2
	s_cbranch_execz .LBB19_16
; %bb.15:                               ;   in Loop: Header=BB19_4 Depth=1
	s_delay_alu instid0(VALU_DEP_1) | instskip(SKIP_4) | instid1(VALU_DEP_1)
	v_lshl_add_u64 v[20:21], v[2:3], 3, v[14:15]
	ds_load_b64 v[24:25], v16
	global_load_b64 v[22:23], v[20:21], off
	s_wait_dscnt 0x0
	v_pk_mul_f32 v[26:27], v[0:1], v[24:25] op_sel:[0,1] op_sel_hi:[0,0]
	v_pk_fma_f32 v[28:29], v[12:13], v[24:25], v[26:27] op_sel_hi:[0,1,1]
	v_pk_fma_f32 v[24:25], v[12:13], v[24:25], v[26:27] neg_lo:[0,0,1] neg_hi:[0,0,1]
	s_delay_alu instid0(VALU_DEP_2) | instskip(SKIP_1) | instid1(VALU_DEP_1)
	v_mov_b32_e32 v25, v29
	s_wait_loadcnt 0x0
	v_pk_add_f32 v[22:23], v[22:23], v[24:25]
	global_store_b64 v[20:21], v[22:23], off
.LBB19_16:                              ;   in Loop: Header=BB19_4 Depth=1
	s_wait_xcnt 0x0
	s_or_b32 exec_lo, exec_lo, s11
	s_delay_alu instid0(SALU_CYCLE_1)
	s_and_b32 exec_lo, exec_lo, s5
	s_cbranch_execz .LBB19_2
; %bb.17:                               ;   in Loop: Header=BB19_4 Depth=1
	v_lshl_add_u64 v[14:15], v[4:5], 3, v[14:15]
	ds_load_b64 v[22:23], v16 offset:8
	global_load_b64 v[20:21], v[14:15], off
	s_wait_dscnt 0x0
	v_pk_mul_f32 v[24:25], v[0:1], v[22:23] op_sel:[0,1] op_sel_hi:[0,0]
	s_delay_alu instid0(VALU_DEP_1) | instskip(SKIP_1) | instid1(VALU_DEP_2)
	v_pk_fma_f32 v[26:27], v[12:13], v[22:23], v[24:25] op_sel_hi:[0,1,1]
	v_pk_fma_f32 v[12:13], v[12:13], v[22:23], v[24:25] neg_lo:[0,0,1] neg_hi:[0,0,1]
	v_mov_b32_e32 v13, v27
	s_wait_loadcnt 0x0
	s_delay_alu instid0(VALU_DEP_1)
	v_pk_add_f32 v[12:13], v[20:21], v[12:13]
	global_store_b64 v[14:15], v[12:13], off
	s_branch .LBB19_2
.LBB19_18:
	s_endpgm
	.section	.rodata,"a",@progbits
	.p2align	6, 0x0
	.amdhsa_kernel _ZL18rocblas_ger_kernelILi32ELi32ELi2ELb0E19rocblas_complex_numIfEPKS1_S3_PS1_EviiT4_lT5_lllS6_lllT6_lmli
		.amdhsa_group_segment_fixed_size 768
		.amdhsa_private_segment_fixed_size 0
		.amdhsa_kernarg_size 124
		.amdhsa_user_sgpr_count 2
		.amdhsa_user_sgpr_dispatch_ptr 0
		.amdhsa_user_sgpr_queue_ptr 0
		.amdhsa_user_sgpr_kernarg_segment_ptr 1
		.amdhsa_user_sgpr_dispatch_id 0
		.amdhsa_user_sgpr_kernarg_preload_length 0
		.amdhsa_user_sgpr_kernarg_preload_offset 0
		.amdhsa_user_sgpr_private_segment_size 0
		.amdhsa_wavefront_size32 1
		.amdhsa_uses_dynamic_stack 0
		.amdhsa_enable_private_segment 0
		.amdhsa_system_sgpr_workgroup_id_x 1
		.amdhsa_system_sgpr_workgroup_id_y 0
		.amdhsa_system_sgpr_workgroup_id_z 1
		.amdhsa_system_sgpr_workgroup_info 0
		.amdhsa_system_vgpr_workitem_id 1
		.amdhsa_next_free_vgpr 30
		.amdhsa_next_free_sgpr 38
		.amdhsa_named_barrier_count 0
		.amdhsa_reserve_vcc 1
		.amdhsa_float_round_mode_32 0
		.amdhsa_float_round_mode_16_64 0
		.amdhsa_float_denorm_mode_32 3
		.amdhsa_float_denorm_mode_16_64 3
		.amdhsa_fp16_overflow 0
		.amdhsa_memory_ordered 1
		.amdhsa_forward_progress 1
		.amdhsa_inst_pref_size 9
		.amdhsa_round_robin_scheduling 0
		.amdhsa_exception_fp_ieee_invalid_op 0
		.amdhsa_exception_fp_denorm_src 0
		.amdhsa_exception_fp_ieee_div_zero 0
		.amdhsa_exception_fp_ieee_overflow 0
		.amdhsa_exception_fp_ieee_underflow 0
		.amdhsa_exception_fp_ieee_inexact 0
		.amdhsa_exception_int_div_zero 0
	.end_amdhsa_kernel
	.section	.text._ZL18rocblas_ger_kernelILi32ELi32ELi2ELb0E19rocblas_complex_numIfEPKS1_S3_PS1_EviiT4_lT5_lllS6_lllT6_lmli,"axG",@progbits,_ZL18rocblas_ger_kernelILi32ELi32ELi2ELb0E19rocblas_complex_numIfEPKS1_S3_PS1_EviiT4_lT5_lllS6_lllT6_lmli,comdat
.Lfunc_end19:
	.size	_ZL18rocblas_ger_kernelILi32ELi32ELi2ELb0E19rocblas_complex_numIfEPKS1_S3_PS1_EviiT4_lT5_lllS6_lllT6_lmli, .Lfunc_end19-_ZL18rocblas_ger_kernelILi32ELi32ELi2ELb0E19rocblas_complex_numIfEPKS1_S3_PS1_EviiT4_lT5_lllS6_lllT6_lmli
                                        ; -- End function
	.set _ZL18rocblas_ger_kernelILi32ELi32ELi2ELb0E19rocblas_complex_numIfEPKS1_S3_PS1_EviiT4_lT5_lllS6_lllT6_lmli.num_vgpr, 30
	.set _ZL18rocblas_ger_kernelILi32ELi32ELi2ELb0E19rocblas_complex_numIfEPKS1_S3_PS1_EviiT4_lT5_lllS6_lllT6_lmli.num_agpr, 0
	.set _ZL18rocblas_ger_kernelILi32ELi32ELi2ELb0E19rocblas_complex_numIfEPKS1_S3_PS1_EviiT4_lT5_lllS6_lllT6_lmli.numbered_sgpr, 38
	.set _ZL18rocblas_ger_kernelILi32ELi32ELi2ELb0E19rocblas_complex_numIfEPKS1_S3_PS1_EviiT4_lT5_lllS6_lllT6_lmli.num_named_barrier, 0
	.set _ZL18rocblas_ger_kernelILi32ELi32ELi2ELb0E19rocblas_complex_numIfEPKS1_S3_PS1_EviiT4_lT5_lllS6_lllT6_lmli.private_seg_size, 0
	.set _ZL18rocblas_ger_kernelILi32ELi32ELi2ELb0E19rocblas_complex_numIfEPKS1_S3_PS1_EviiT4_lT5_lllS6_lllT6_lmli.uses_vcc, 1
	.set _ZL18rocblas_ger_kernelILi32ELi32ELi2ELb0E19rocblas_complex_numIfEPKS1_S3_PS1_EviiT4_lT5_lllS6_lllT6_lmli.uses_flat_scratch, 0
	.set _ZL18rocblas_ger_kernelILi32ELi32ELi2ELb0E19rocblas_complex_numIfEPKS1_S3_PS1_EviiT4_lT5_lllS6_lllT6_lmli.has_dyn_sized_stack, 0
	.set _ZL18rocblas_ger_kernelILi32ELi32ELi2ELb0E19rocblas_complex_numIfEPKS1_S3_PS1_EviiT4_lT5_lllS6_lllT6_lmli.has_recursion, 0
	.set _ZL18rocblas_ger_kernelILi32ELi32ELi2ELb0E19rocblas_complex_numIfEPKS1_S3_PS1_EviiT4_lT5_lllS6_lllT6_lmli.has_indirect_call, 0
	.section	.AMDGPU.csdata,"",@progbits
; Kernel info:
; codeLenInByte = 1068
; TotalNumSgprs: 40
; NumVgprs: 30
; ScratchSize: 0
; MemoryBound: 0
; FloatMode: 240
; IeeeMode: 1
; LDSByteSize: 768 bytes/workgroup (compile time only)
; SGPRBlocks: 0
; VGPRBlocks: 1
; NumSGPRsForWavesPerEU: 40
; NumVGPRsForWavesPerEU: 30
; NamedBarCnt: 0
; Occupancy: 16
; WaveLimiterHint : 0
; COMPUTE_PGM_RSRC2:SCRATCH_EN: 0
; COMPUTE_PGM_RSRC2:USER_SGPR: 2
; COMPUTE_PGM_RSRC2:TRAP_HANDLER: 0
; COMPUTE_PGM_RSRC2:TGID_X_EN: 1
; COMPUTE_PGM_RSRC2:TGID_Y_EN: 0
; COMPUTE_PGM_RSRC2:TGID_Z_EN: 1
; COMPUTE_PGM_RSRC2:TIDIG_COMP_CNT: 1
	.section	.text._ZL18rocblas_ger_kernelILi32ELi32ELi2ELb0E19rocblas_complex_numIfES1_PKS1_PS1_EviiT4_lT5_lllS6_lllT6_lmli,"axG",@progbits,_ZL18rocblas_ger_kernelILi32ELi32ELi2ELb0E19rocblas_complex_numIfES1_PKS1_PS1_EviiT4_lT5_lllS6_lllT6_lmli,comdat
	.globl	_ZL18rocblas_ger_kernelILi32ELi32ELi2ELb0E19rocblas_complex_numIfES1_PKS1_PS1_EviiT4_lT5_lllS6_lllT6_lmli ; -- Begin function _ZL18rocblas_ger_kernelILi32ELi32ELi2ELb0E19rocblas_complex_numIfES1_PKS1_PS1_EviiT4_lT5_lllS6_lllT6_lmli
	.p2align	8
	.type	_ZL18rocblas_ger_kernelILi32ELi32ELi2ELb0E19rocblas_complex_numIfES1_PKS1_PS1_EviiT4_lT5_lllS6_lllT6_lmli,@function
_ZL18rocblas_ger_kernelILi32ELi32ELi2ELb0E19rocblas_complex_numIfES1_PKS1_PS1_EviiT4_lT5_lllS6_lllT6_lmli: ; @_ZL18rocblas_ger_kernelILi32ELi32ELi2ELb0E19rocblas_complex_numIfES1_PKS1_PS1_EviiT4_lT5_lllS6_lllT6_lmli
; %bb.0:
	s_load_b32 s30, s[0:1], 0x78
	s_bfe_u32 s2, ttmp6, 0x40014
	s_lshr_b32 s3, ttmp7, 16
	s_add_co_i32 s2, s2, 1
	s_bfe_u32 s5, ttmp6, 0x40008
	s_mul_i32 s4, s3, s2
	s_getreg_b32 s2, hwreg(HW_REG_IB_STS2, 6, 4)
	s_add_co_i32 s5, s5, s4
	s_cmp_eq_u32 s2, 0
	s_mov_b32 s29, 0
	s_cselect_b32 s28, s3, s5
	s_wait_kmcnt 0x0
	s_cmp_ge_u32 s28, s30
	s_cbranch_scc1 .LBB20_18
; %bb.1:
	s_clause 0x1
	s_load_b128 s[4:7], s[0:1], 0x0
	s_load_b128 s[24:27], s[0:1], 0x20
	s_bfe_u32 s10, ttmp6, 0x4000c
	s_and_b32 s9, ttmp6, 15
	s_add_co_i32 s10, s10, 1
	s_load_b256 s[16:23], s[0:1], 0x30
	s_mul_i32 s10, ttmp9, s10
	v_bfe_u32 v12, v0, 10, 10
	s_add_co_i32 s9, s9, s10
	v_and_b32_e32 v16, 0x3ff, v0
	s_delay_alu instid0(VALU_DEP_2) | instskip(SKIP_2) | instid1(SALU_CYCLE_1)
	v_dual_mov_b32 v9, 0 :: v_dual_lshlrev_b32 v13, 4, v12
	s_wait_kmcnt 0x0
	s_add_co_i32 s3, s4, -1
	s_ashr_i32 s8, s3, 31
	s_delay_alu instid0(SALU_CYCLE_1) | instskip(NEXT) | instid1(SALU_CYCLE_1)
	s_lshr_b32 s8, s8, 27
	s_add_co_i32 s3, s3, s8
	s_delay_alu instid0(SALU_CYCLE_1) | instskip(NEXT) | instid1(SALU_CYCLE_1)
	s_ashr_i32 s3, s3, 5
	s_add_co_i32 s31, s3, 1
	s_not_b32 s3, s3
	s_cvt_f32_u32 s8, s31
	s_delay_alu instid0(SALU_CYCLE_3) | instskip(SKIP_1) | instid1(TRANS32_DEP_1)
	v_rcp_iflag_f32_e32 v1, s8
	v_nop
	v_readfirstlane_b32 s8, v1
	v_lshlrev_b32_e32 v1, 1, v12
	s_mul_f32 s8, s8, 0x4f7ffffe
	s_delay_alu instid0(SALU_CYCLE_3) | instskip(NEXT) | instid1(SALU_CYCLE_3)
	s_cvt_u32_f32 s8, s8
	s_mul_i32 s3, s3, s8
	s_delay_alu instid0(SALU_CYCLE_1) | instskip(NEXT) | instid1(SALU_CYCLE_1)
	s_mul_hi_u32 s3, s8, s3
	s_add_co_i32 s3, s8, s3
	s_cmp_eq_u32 s2, 0
	s_cselect_b32 s2, ttmp9, s9
	s_load_b256 s[8:15], s[0:1], 0x50
	s_mul_hi_u32 s3, s2, s3
	s_delay_alu instid0(SALU_CYCLE_1) | instskip(SKIP_2) | instid1(SALU_CYCLE_1)
	s_mul_i32 s33, s3, s31
	s_add_co_i32 s34, s3, 1
	s_sub_co_i32 s33, s2, s33
	s_sub_co_i32 s35, s33, s31
	s_cmp_ge_u32 s33, s31
	s_cselect_b32 s3, s34, s3
	s_cselect_b32 s33, s35, s33
	s_add_co_i32 s34, s3, 1
	s_cmp_ge_u32 s33, s31
	s_cselect_b32 s3, s34, s3
	s_lshl_b64 s[20:21], s[20:21], 3
	s_mul_i32 s31, s3, s31
	v_lshl_add_u32 v4, s3, 6, v1
	s_sub_co_i32 s2, s2, s31
	s_wait_kmcnt 0x0
	s_lshl_b64 s[12:13], s[12:13], 3
	v_lshl_add_u32 v6, s2, 5, v16
	s_load_b64 s[2:3], s[0:1], 0x18
	v_or_b32_e32 v8, v4, v16
	v_dual_ashrrev_i32 v5, 31, v4 :: v_dual_bitop2_b32 v10, 1, v4 bitop3:0x54
	s_delay_alu instid0(VALU_DEP_3) | instskip(SKIP_1) | instid1(VALU_DEP_3)
	v_ashrrev_i32_e32 v7, 31, v6
	s_add_nc_u64 s[10:11], s[10:11], s[12:13]
	v_mul_u64_e32 v[14:15], s[22:23], v[8:9]
	s_delay_alu instid0(VALU_DEP_3)
	v_ashrrev_i32_e32 v11, 31, v10
	v_mul_u64_e32 v[0:1], s[14:15], v[4:5]
	v_mul_u64_e32 v[18:19], s[26:27], v[6:7]
	v_lshlrev_b32_e32 v5, 3, v16
	s_lshl_b64 s[22:23], s[24:25], 3
	v_mul_u64_e32 v[2:3], s[14:15], v[10:11]
	s_load_b64 s[14:15], s[0:1], 0x70
	s_or_b32 s24, s6, s7
	s_add_nc_u64 s[12:13], s[18:19], s[20:21]
	s_bitset0_b32 s24, 31
	s_wait_xcnt 0x0
	v_cmp_eq_u32_e64 s0, 0, v12
	v_cmp_gt_u32_e64 s1, 2, v16
	v_add_nc_u32_e32 v16, 0x200, v5
	s_wait_kmcnt 0x0
	s_add_nc_u64 s[18:19], s[2:3], s[22:23]
	v_add_nc_u32_e32 v17, v13, v5
	v_cmp_gt_i32_e64 s2, s5, v4
	v_cmp_gt_i32_e64 s3, s4, v6
	v_cmp_gt_u32_e64 s4, s5, v8
	v_cmp_gt_i32_e64 s5, s5, v10
	v_lshl_add_u64 v[4:5], v[6:7], 3, s[10:11]
	s_cmp_lg_u32 s24, 0
	s_cselect_b32 s10, -1, 0
	v_lshl_add_u64 v[6:7], v[14:15], 3, s[12:13]
	v_lshl_add_u64 v[8:9], v[18:19], 3, s[18:19]
	s_branch .LBB20_4
.LBB20_2:                               ;   in Loop: Header=BB20_4 Depth=1
	s_wait_xcnt 0x0
	s_or_b32 exec_lo, exec_lo, s11
.LBB20_3:                               ;   in Loop: Header=BB20_4 Depth=1
	s_add_co_i32 s28, s28, 0x10000
	s_delay_alu instid0(SALU_CYCLE_1)
	s_cmp_lt_u32 s28, s30
	s_cbranch_scc0 .LBB20_18
.LBB20_4:                               ; =>This Inner Loop Header: Depth=1
	s_and_not1_b32 vcc_lo, exec_lo, s10
	s_cbranch_vccnz .LBB20_3
; %bb.5:                                ;   in Loop: Header=BB20_4 Depth=1
	s_and_saveexec_b32 s11, s0
	s_cbranch_execz .LBB20_9
; %bb.6:                                ;   in Loop: Header=BB20_4 Depth=1
	v_dual_mov_b32 v10, 0 :: v_dual_mov_b32 v11, 0
	s_and_saveexec_b32 s12, s3
	s_cbranch_execz .LBB20_8
; %bb.7:                                ;   in Loop: Header=BB20_4 Depth=1
	s_mul_u64 s[18:19], s[16:17], s[28:29]
	s_delay_alu instid0(SALU_CYCLE_1)
	v_lshl_add_u64 v[10:11], s[18:19], 3, v[8:9]
	global_load_b64 v[10:11], v[10:11], off
.LBB20_8:                               ;   in Loop: Header=BB20_4 Depth=1
	s_wait_xcnt 0x0
	s_or_b32 exec_lo, exec_lo, s12
	s_wait_loadcnt 0x0
	ds_store_b64 v16, v[10:11]
.LBB20_9:                               ;   in Loop: Header=BB20_4 Depth=1
	s_or_b32 exec_lo, exec_lo, s11
	s_and_saveexec_b32 s11, s1
	s_cbranch_execz .LBB20_13
; %bb.10:                               ;   in Loop: Header=BB20_4 Depth=1
	v_dual_mov_b32 v10, 0 :: v_dual_mov_b32 v11, 0
	s_and_saveexec_b32 s12, s4
	s_cbranch_execz .LBB20_12
; %bb.11:                               ;   in Loop: Header=BB20_4 Depth=1
	s_mul_u64 s[18:19], s[8:9], s[28:29]
	s_delay_alu instid0(SALU_CYCLE_1)
	v_lshl_add_u64 v[10:11], s[18:19], 3, v[6:7]
	global_load_b64 v[10:11], v[10:11], off
.LBB20_12:                              ;   in Loop: Header=BB20_4 Depth=1
	s_wait_xcnt 0x0
	s_or_b32 exec_lo, exec_lo, s12
	s_wait_loadcnt 0x0
	ds_store_b64 v17, v[10:11]
.LBB20_13:                              ;   in Loop: Header=BB20_4 Depth=1
	s_or_b32 exec_lo, exec_lo, s11
	s_wait_dscnt 0x0
	s_barrier_signal -1
	s_barrier_wait -1
	s_and_saveexec_b32 s11, s3
	s_cbranch_execz .LBB20_2
; %bb.14:                               ;   in Loop: Header=BB20_4 Depth=1
	ds_load_b64 v[14:15], v16
	s_mul_u64 s[12:13], s[14:15], s[28:29]
	s_wait_dscnt 0x0
	v_dual_mul_f32 v11, s7, v15 :: v_dual_mul_f32 v10, s6, v15
	s_delay_alu instid0(VALU_DEP_1) | instskip(NEXT) | instid1(VALU_DEP_2)
	v_fma_f32 v12, v14, s6, -v11
	v_fmac_f32_e32 v10, s7, v14
	v_lshl_add_u64 v[14:15], s[12:13], 3, v[4:5]
	s_and_saveexec_b32 s12, s2
	s_cbranch_execz .LBB20_16
; %bb.15:                               ;   in Loop: Header=BB20_4 Depth=1
	s_delay_alu instid0(VALU_DEP_1) | instskip(SKIP_4) | instid1(VALU_DEP_1)
	v_lshl_add_u64 v[18:19], v[0:1], 3, v[14:15]
	ds_load_b64 v[22:23], v13
	global_load_b64 v[20:21], v[18:19], off
	s_wait_dscnt 0x0
	v_pk_mul_f32 v[24:25], v[10:11], v[22:23] op_sel:[0,1] op_sel_hi:[0,0]
	v_pk_fma_f32 v[26:27], v[12:13], v[22:23], v[24:25] op_sel_hi:[0,1,1]
	v_pk_fma_f32 v[22:23], v[12:13], v[22:23], v[24:25] neg_lo:[0,0,1] neg_hi:[0,0,1]
	s_delay_alu instid0(VALU_DEP_2) | instskip(SKIP_1) | instid1(VALU_DEP_1)
	v_mov_b32_e32 v23, v27
	s_wait_loadcnt 0x0
	v_pk_add_f32 v[20:21], v[20:21], v[22:23]
	global_store_b64 v[18:19], v[20:21], off
.LBB20_16:                              ;   in Loop: Header=BB20_4 Depth=1
	s_wait_xcnt 0x0
	s_or_b32 exec_lo, exec_lo, s12
	s_delay_alu instid0(SALU_CYCLE_1)
	s_and_b32 exec_lo, exec_lo, s5
	s_cbranch_execz .LBB20_2
; %bb.17:                               ;   in Loop: Header=BB20_4 Depth=1
	v_lshl_add_u64 v[14:15], v[2:3], 3, v[14:15]
	ds_load_b64 v[20:21], v13 offset:8
	global_load_b64 v[18:19], v[14:15], off
	s_wait_dscnt 0x0
	v_pk_mul_f32 v[10:11], v[10:11], v[20:21] op_sel:[0,1] op_sel_hi:[0,0]
	s_delay_alu instid0(VALU_DEP_1) | instskip(SKIP_1) | instid1(VALU_DEP_2)
	v_pk_fma_f32 v[22:23], v[12:13], v[20:21], v[10:11] op_sel_hi:[0,1,1]
	v_pk_fma_f32 v[10:11], v[12:13], v[20:21], v[10:11] neg_lo:[0,0,1] neg_hi:[0,0,1]
	v_mov_b32_e32 v11, v23
	s_wait_loadcnt 0x0
	s_delay_alu instid0(VALU_DEP_1)
	v_pk_add_f32 v[10:11], v[18:19], v[10:11]
	global_store_b64 v[14:15], v[10:11], off
	s_branch .LBB20_2
.LBB20_18:
	s_endpgm
	.section	.rodata,"a",@progbits
	.p2align	6, 0x0
	.amdhsa_kernel _ZL18rocblas_ger_kernelILi32ELi32ELi2ELb0E19rocblas_complex_numIfES1_PKS1_PS1_EviiT4_lT5_lllS6_lllT6_lmli
		.amdhsa_group_segment_fixed_size 768
		.amdhsa_private_segment_fixed_size 0
		.amdhsa_kernarg_size 124
		.amdhsa_user_sgpr_count 2
		.amdhsa_user_sgpr_dispatch_ptr 0
		.amdhsa_user_sgpr_queue_ptr 0
		.amdhsa_user_sgpr_kernarg_segment_ptr 1
		.amdhsa_user_sgpr_dispatch_id 0
		.amdhsa_user_sgpr_kernarg_preload_length 0
		.amdhsa_user_sgpr_kernarg_preload_offset 0
		.amdhsa_user_sgpr_private_segment_size 0
		.amdhsa_wavefront_size32 1
		.amdhsa_uses_dynamic_stack 0
		.amdhsa_enable_private_segment 0
		.amdhsa_system_sgpr_workgroup_id_x 1
		.amdhsa_system_sgpr_workgroup_id_y 0
		.amdhsa_system_sgpr_workgroup_id_z 1
		.amdhsa_system_sgpr_workgroup_info 0
		.amdhsa_system_vgpr_workitem_id 1
		.amdhsa_next_free_vgpr 28
		.amdhsa_next_free_sgpr 36
		.amdhsa_named_barrier_count 0
		.amdhsa_reserve_vcc 1
		.amdhsa_float_round_mode_32 0
		.amdhsa_float_round_mode_16_64 0
		.amdhsa_float_denorm_mode_32 3
		.amdhsa_float_denorm_mode_16_64 3
		.amdhsa_fp16_overflow 0
		.amdhsa_memory_ordered 1
		.amdhsa_forward_progress 1
		.amdhsa_inst_pref_size 8
		.amdhsa_round_robin_scheduling 0
		.amdhsa_exception_fp_ieee_invalid_op 0
		.amdhsa_exception_fp_denorm_src 0
		.amdhsa_exception_fp_ieee_div_zero 0
		.amdhsa_exception_fp_ieee_overflow 0
		.amdhsa_exception_fp_ieee_underflow 0
		.amdhsa_exception_fp_ieee_inexact 0
		.amdhsa_exception_int_div_zero 0
	.end_amdhsa_kernel
	.section	.text._ZL18rocblas_ger_kernelILi32ELi32ELi2ELb0E19rocblas_complex_numIfES1_PKS1_PS1_EviiT4_lT5_lllS6_lllT6_lmli,"axG",@progbits,_ZL18rocblas_ger_kernelILi32ELi32ELi2ELb0E19rocblas_complex_numIfES1_PKS1_PS1_EviiT4_lT5_lllS6_lllT6_lmli,comdat
.Lfunc_end20:
	.size	_ZL18rocblas_ger_kernelILi32ELi32ELi2ELb0E19rocblas_complex_numIfES1_PKS1_PS1_EviiT4_lT5_lllS6_lllT6_lmli, .Lfunc_end20-_ZL18rocblas_ger_kernelILi32ELi32ELi2ELb0E19rocblas_complex_numIfES1_PKS1_PS1_EviiT4_lT5_lllS6_lllT6_lmli
                                        ; -- End function
	.set _ZL18rocblas_ger_kernelILi32ELi32ELi2ELb0E19rocblas_complex_numIfES1_PKS1_PS1_EviiT4_lT5_lllS6_lllT6_lmli.num_vgpr, 28
	.set _ZL18rocblas_ger_kernelILi32ELi32ELi2ELb0E19rocblas_complex_numIfES1_PKS1_PS1_EviiT4_lT5_lllS6_lllT6_lmli.num_agpr, 0
	.set _ZL18rocblas_ger_kernelILi32ELi32ELi2ELb0E19rocblas_complex_numIfES1_PKS1_PS1_EviiT4_lT5_lllS6_lllT6_lmli.numbered_sgpr, 36
	.set _ZL18rocblas_ger_kernelILi32ELi32ELi2ELb0E19rocblas_complex_numIfES1_PKS1_PS1_EviiT4_lT5_lllS6_lllT6_lmli.num_named_barrier, 0
	.set _ZL18rocblas_ger_kernelILi32ELi32ELi2ELb0E19rocblas_complex_numIfES1_PKS1_PS1_EviiT4_lT5_lllS6_lllT6_lmli.private_seg_size, 0
	.set _ZL18rocblas_ger_kernelILi32ELi32ELi2ELb0E19rocblas_complex_numIfES1_PKS1_PS1_EviiT4_lT5_lllS6_lllT6_lmli.uses_vcc, 1
	.set _ZL18rocblas_ger_kernelILi32ELi32ELi2ELb0E19rocblas_complex_numIfES1_PKS1_PS1_EviiT4_lT5_lllS6_lllT6_lmli.uses_flat_scratch, 0
	.set _ZL18rocblas_ger_kernelILi32ELi32ELi2ELb0E19rocblas_complex_numIfES1_PKS1_PS1_EviiT4_lT5_lllS6_lllT6_lmli.has_dyn_sized_stack, 0
	.set _ZL18rocblas_ger_kernelILi32ELi32ELi2ELb0E19rocblas_complex_numIfES1_PKS1_PS1_EviiT4_lT5_lllS6_lllT6_lmli.has_recursion, 0
	.set _ZL18rocblas_ger_kernelILi32ELi32ELi2ELb0E19rocblas_complex_numIfES1_PKS1_PS1_EviiT4_lT5_lllS6_lllT6_lmli.has_indirect_call, 0
	.section	.AMDGPU.csdata,"",@progbits
; Kernel info:
; codeLenInByte = 1020
; TotalNumSgprs: 38
; NumVgprs: 28
; ScratchSize: 0
; MemoryBound: 0
; FloatMode: 240
; IeeeMode: 1
; LDSByteSize: 768 bytes/workgroup (compile time only)
; SGPRBlocks: 0
; VGPRBlocks: 1
; NumSGPRsForWavesPerEU: 38
; NumVGPRsForWavesPerEU: 28
; NamedBarCnt: 0
; Occupancy: 16
; WaveLimiterHint : 1
; COMPUTE_PGM_RSRC2:SCRATCH_EN: 0
; COMPUTE_PGM_RSRC2:USER_SGPR: 2
; COMPUTE_PGM_RSRC2:TRAP_HANDLER: 0
; COMPUTE_PGM_RSRC2:TGID_X_EN: 1
; COMPUTE_PGM_RSRC2:TGID_Y_EN: 0
; COMPUTE_PGM_RSRC2:TGID_Z_EN: 1
; COMPUTE_PGM_RSRC2:TIDIG_COMP_CNT: 1
	.section	.text._ZL34rocblas_ger_double_buffered_kernelILb0ELi64ELi16ELi2E19rocblas_complex_numIdE24rocblas_internal_val_ptrIS1_EPKS1_PS1_EvbiiT4_lT5_lllS8_lllT6_lmli,"axG",@progbits,_ZL34rocblas_ger_double_buffered_kernelILb0ELi64ELi16ELi2E19rocblas_complex_numIdE24rocblas_internal_val_ptrIS1_EPKS1_PS1_EvbiiT4_lT5_lllS8_lllT6_lmli,comdat
	.globl	_ZL34rocblas_ger_double_buffered_kernelILb0ELi64ELi16ELi2E19rocblas_complex_numIdE24rocblas_internal_val_ptrIS1_EPKS1_PS1_EvbiiT4_lT5_lllS8_lllT6_lmli ; -- Begin function _ZL34rocblas_ger_double_buffered_kernelILb0ELi64ELi16ELi2E19rocblas_complex_numIdE24rocblas_internal_val_ptrIS1_EPKS1_PS1_EvbiiT4_lT5_lllS8_lllT6_lmli
	.p2align	8
	.type	_ZL34rocblas_ger_double_buffered_kernelILb0ELi64ELi16ELi2E19rocblas_complex_numIdE24rocblas_internal_val_ptrIS1_EPKS1_PS1_EvbiiT4_lT5_lllS8_lllT6_lmli,@function
_ZL34rocblas_ger_double_buffered_kernelILb0ELi64ELi16ELi2E19rocblas_complex_numIdE24rocblas_internal_val_ptrIS1_EPKS1_PS1_EvbiiT4_lT5_lllS8_lllT6_lmli: ; @_ZL34rocblas_ger_double_buffered_kernelILb0ELi64ELi16ELi2E19rocblas_complex_numIdE24rocblas_internal_val_ptrIS1_EPKS1_PS1_EvbiiT4_lT5_lllS8_lllT6_lmli
; %bb.0:
	s_load_b32 s33, s[0:1], 0x88
	s_bfe_u32 s2, ttmp6, 0x40014
	s_lshr_b32 s3, ttmp7, 16
	s_add_co_i32 s2, s2, 1
	s_bfe_u32 s4, ttmp6, 0x40008
	s_mul_i32 s2, s3, s2
	s_getreg_b32 s36, hwreg(HW_REG_IB_STS2, 6, 4)
	s_add_co_i32 s4, s4, s2
	s_cmp_eq_u32 s36, 0
	s_cselect_b32 s2, s3, s4
	s_mov_b32 s3, 0
	s_wait_kmcnt 0x0
	s_cmp_ge_u32 s2, s33
	s_cbranch_scc1 .LBB21_7
; %bb.1:
	v_dual_lshrrev_b32 v1, 4, v0 :: v_dual_mov_b32 v9, 0
	s_clause 0x1
	s_load_b256 s[4:11], s[0:1], 0x20
	s_load_b256 s[12:19], s[0:1], 0x60
	v_and_b32_e32 v2, 0x3ff, v0
	s_load_b256 s[20:27], s[0:1], 0x40
	v_and_b32_e32 v1, 0xffc0, v1
	s_clause 0x2
	s_load_b32 s37, s[0:1], 0x0
	s_load_b128 s[28:31], s[0:1], 0x10
	s_load_b64 s[34:35], s[0:1], 0x80
	s_wait_xcnt 0x0
	s_mov_b32 s1, s3
	v_dual_add_nc_u32 v1, v1, v2 :: v_dual_bitop2_b32 v10, 31, v0 bitop3:0x40
	v_dual_mov_b32 v11, v9 :: v_dual_mov_b32 v3, v9
	s_delay_alu instid0(VALU_DEP_2) | instskip(NEXT) | instid1(VALU_DEP_1)
	v_dual_lshrrev_b32 v6, 4, v1 :: v_dual_bitop2_b32 v2, 32, v10 bitop3:0x54
	v_and_b32_e32 v8, 0x1ffe, v6
	s_wait_kmcnt 0x0
	s_delay_alu instid0(VALU_DEP_3) | instskip(NEXT) | instid1(VALU_DEP_3)
	v_mul_u64_e32 v[0:1], s[10:11], v[10:11]
	v_mul_u64_e32 v[2:3], s[10:11], v[2:3]
	s_delay_alu instid0(VALU_DEP_3)
	v_mul_u64_e32 v[12:13], s[18:19], v[8:9]
	v_mul_u64_e32 v[4:5], s[26:27], v[8:9]
	v_or_b32_e32 v8, 1, v6
	s_bitcmp1_b32 s37, 0
	s_cselect_b32 s0, -1, 0
	s_bfe_u32 s38, ttmp6, 0x4000c
	s_bfe_u32 s40, ttmp6, 0x40010
	v_mul_u64_e32 v[6:7], s[26:27], v[8:9]
	s_and_b32 s39, ttmp7, 0xffff
	s_add_co_i32 s38, s38, 1
	s_add_co_i32 s40, s40, 1
	s_and_b32 s37, ttmp6, 15
	s_bfe_u32 s41, ttmp6, 0x40004
	s_xor_b32 s42, s0, -1
	s_mul_i32 s0, ttmp9, s38
	s_mul_i32 s38, s39, s40
	s_lshl_b64 s[16:17], s[16:17], 4
	s_lshl_b64 s[24:25], s[24:25], 4
	;; [unrolled: 1-line block ×3, first 2 shown]
	s_add_co_i32 s37, s37, s0
	s_add_co_i32 s41, s41, s38
	s_cmp_eq_u32 s36, 0
	s_add_nc_u64 s[14:15], s[14:15], s[16:17]
	s_cselect_b32 s0, ttmp9, s37
	s_cselect_b32 s17, s39, s41
	s_lshl_b32 s16, s0, 6
	s_lshl_b32 s0, s17, 6
	s_ashr_i32 s17, s16, 31
	s_mul_u64 s[36:37], s[18:19], s[0:1]
	s_lshl_b64 s[38:39], s[16:17], 4
	s_lshl_b64 s[36:37], s[36:37], 4
	s_add_nc_u64 s[14:15], s[14:15], s[38:39]
	v_lshlrev_b32_e32 v8, 4, v10
	s_add_nc_u64 s[14:15], s[14:15], s[36:37]
	s_mul_u64 s[10:11], s[10:11], s[16:17]
	v_lshl_add_u64 v[10:11], v[12:13], 4, s[14:15]
	v_cndmask_b32_e64 v12, 0, 1, s42
	s_add_nc_u64 s[6:7], s[6:7], s[8:9]
	s_lshl_b64 s[8:9], s[10:11], 4
	s_mul_u64 s[10:11], s[26:27], s[0:1]
	v_add_nc_u64_e32 v[8:9], v[10:11], v[8:9]
	v_cmp_ne_u32_e64 s0, 1, v12
	s_add_nc_u64 s[22:23], s[22:23], s[24:25]
	s_lshl_b64 s[10:11], s[10:11], 4
	s_add_nc_u64 s[6:7], s[6:7], s[8:9]
	s_add_nc_u64 s[14:15], s[22:23], s[10:11]
	s_branch .LBB21_3
.LBB21_2:                               ;   in Loop: Header=BB21_3 Depth=1
	s_add_co_i32 s2, s2, 0x10000
	s_delay_alu instid0(SALU_CYCLE_1)
	s_cmp_lt_u32 s2, s33
	s_cbranch_scc0 .LBB21_7
.LBB21_3:                               ; =>This Inner Loop Header: Depth=1
	s_and_b32 vcc_lo, exec_lo, s0
	s_mov_b64 s[8:9], s[28:29]
	s_mov_b64 s[10:11], s[30:31]
	s_cbranch_vccnz .LBB21_5
; %bb.4:                                ;   in Loop: Header=BB21_3 Depth=1
	s_mul_u64 s[8:9], s[4:5], s[2:3]
	s_delay_alu instid0(SALU_CYCLE_1) | instskip(NEXT) | instid1(SALU_CYCLE_1)
	s_lshl_b64 s[8:9], s[8:9], 4
	s_add_nc_u64 s[16:17], s[28:29], s[8:9]
	s_load_b128 s[8:11], s[16:17], 0x0
.LBB21_5:                               ;   in Loop: Header=BB21_3 Depth=1
	s_wait_kmcnt 0x0
	v_cmp_neq_f64_e64 s1, s[8:9], 0
	s_wait_xcnt 0x0
	v_cmp_neq_f64_e64 s16, s[10:11], 0
	s_or_b32 s1, s1, s16
	s_delay_alu instid0(SALU_CYCLE_1)
	s_and_not1_b32 vcc_lo, exec_lo, s1
	s_cbranch_vccnz .LBB21_2
; %bb.6:                                ;   in Loop: Header=BB21_3 Depth=1
	s_mul_u64 s[16:17], s[20:21], s[2:3]
	s_delay_alu instid0(SALU_CYCLE_1) | instskip(NEXT) | instid1(SALU_CYCLE_1)
	s_lshl_b64 s[16:17], s[16:17], 4
	s_add_nc_u64 s[16:17], s[6:7], s[16:17]
	s_delay_alu instid0(SALU_CYCLE_1) | instskip(SKIP_2) | instid1(SALU_CYCLE_1)
	v_lshl_add_u64 v[10:11], v[0:1], 4, s[16:17]
	v_lshl_add_u64 v[14:15], v[2:3], 4, s[16:17]
	s_mul_u64 s[16:17], s[12:13], s[2:3]
	s_lshl_b64 s[16:17], s[16:17], 4
	s_clause 0x1
	global_load_b128 v[10:13], v[10:11], off
	global_load_b128 v[14:17], v[14:15], off
	s_add_nc_u64 s[16:17], s[14:15], s[16:17]
	s_delay_alu instid0(SALU_CYCLE_1)
	v_lshl_add_u64 v[26:27], v[4:5], 4, s[16:17]
	v_lshl_add_u64 v[28:29], v[6:7], 4, s[16:17]
	s_clause 0x1
	global_load_b128 v[18:21], v[26:27], off
	global_load_b128 v[22:25], v[28:29], off
	s_mul_u64 s[16:17], s[34:35], s[2:3]
	s_delay_alu instid0(SALU_CYCLE_1) | instskip(NEXT) | instid1(VALU_DEP_1)
	v_lshl_add_u64 v[42:43], s[16:17], 4, v[8:9]
	v_lshl_add_u64 v[44:45], s[18:19], 4, v[42:43]
	s_clause 0x3
	global_load_b128 v[26:29], v[42:43], off
	global_load_b128 v[30:33], v[44:45], off
	global_load_b128 v[34:37], v[42:43], off offset:512
	global_load_b128 v[38:41], v[44:45], off offset:512
	s_wait_loadcnt 0x7
	v_mul_f64_e32 v[46:47], s[8:9], v[12:13]
	v_mul_f64_e32 v[12:13], s[10:11], v[12:13]
	s_wait_loadcnt 0x6
	v_mul_f64_e32 v[48:49], s[8:9], v[16:17]
	v_mul_f64_e32 v[16:17], s[10:11], v[16:17]
	s_delay_alu instid0(VALU_DEP_4) | instskip(NEXT) | instid1(VALU_DEP_4)
	v_fmac_f64_e32 v[46:47], s[10:11], v[10:11]
	v_fma_f64 v[10:11], s[8:9], v[10:11], -v[12:13]
	s_delay_alu instid0(VALU_DEP_4) | instskip(NEXT) | instid1(VALU_DEP_4)
	v_fmac_f64_e32 v[48:49], s[10:11], v[14:15]
	v_fma_f64 v[12:13], s[8:9], v[14:15], -v[16:17]
	s_wait_loadcnt 0x5
	s_delay_alu instid0(VALU_DEP_4) | instskip(NEXT) | instid1(VALU_DEP_4)
	v_mul_f64_e32 v[14:15], v[46:47], v[20:21]
	v_mul_f64_e32 v[50:51], v[10:11], v[20:21]
	s_wait_loadcnt 0x4
	v_mul_f64_e32 v[16:17], v[46:47], v[24:25]
	v_mul_f64_e32 v[52:53], v[10:11], v[24:25]
	;; [unrolled: 1-line block ×6, first 2 shown]
	v_fma_f64 v[14:15], v[10:11], v[18:19], -v[14:15]
	v_fmac_f64_e32 v[50:51], v[46:47], v[18:19]
	v_fma_f64 v[16:17], v[10:11], v[22:23], -v[16:17]
	v_fmac_f64_e32 v[52:53], v[46:47], v[22:23]
	;; [unrolled: 2-line block ×4, first 2 shown]
	s_wait_loadcnt 0x3
	v_add_f64_e32 v[10:11], v[26:27], v[14:15]
	v_add_f64_e32 v[12:13], v[50:51], v[28:29]
	s_wait_loadcnt 0x2
	v_add_f64_e32 v[14:15], v[30:31], v[16:17]
	v_add_f64_e32 v[16:17], v[52:53], v[32:33]
	;; [unrolled: 3-line block ×4, first 2 shown]
	s_clause 0x3
	global_store_b128 v[42:43], v[10:13], off
	global_store_b128 v[44:45], v[14:17], off
	global_store_b128 v[42:43], v[18:21], off offset:512
	global_store_b128 v[44:45], v[22:25], off offset:512
	s_branch .LBB21_2
.LBB21_7:
	s_endpgm
	.section	.rodata,"a",@progbits
	.p2align	6, 0x0
	.amdhsa_kernel _ZL34rocblas_ger_double_buffered_kernelILb0ELi64ELi16ELi2E19rocblas_complex_numIdE24rocblas_internal_val_ptrIS1_EPKS1_PS1_EvbiiT4_lT5_lllS8_lllT6_lmli
		.amdhsa_group_segment_fixed_size 0
		.amdhsa_private_segment_fixed_size 0
		.amdhsa_kernarg_size 140
		.amdhsa_user_sgpr_count 2
		.amdhsa_user_sgpr_dispatch_ptr 0
		.amdhsa_user_sgpr_queue_ptr 0
		.amdhsa_user_sgpr_kernarg_segment_ptr 1
		.amdhsa_user_sgpr_dispatch_id 0
		.amdhsa_user_sgpr_kernarg_preload_length 0
		.amdhsa_user_sgpr_kernarg_preload_offset 0
		.amdhsa_user_sgpr_private_segment_size 0
		.amdhsa_wavefront_size32 1
		.amdhsa_uses_dynamic_stack 0
		.amdhsa_enable_private_segment 0
		.amdhsa_system_sgpr_workgroup_id_x 1
		.amdhsa_system_sgpr_workgroup_id_y 1
		.amdhsa_system_sgpr_workgroup_id_z 1
		.amdhsa_system_sgpr_workgroup_info 0
		.amdhsa_system_vgpr_workitem_id 1
		.amdhsa_next_free_vgpr 58
		.amdhsa_next_free_sgpr 43
		.amdhsa_named_barrier_count 0
		.amdhsa_reserve_vcc 1
		.amdhsa_float_round_mode_32 0
		.amdhsa_float_round_mode_16_64 0
		.amdhsa_float_denorm_mode_32 3
		.amdhsa_float_denorm_mode_16_64 3
		.amdhsa_fp16_overflow 0
		.amdhsa_memory_ordered 1
		.amdhsa_forward_progress 1
		.amdhsa_inst_pref_size 8
		.amdhsa_round_robin_scheduling 0
		.amdhsa_exception_fp_ieee_invalid_op 0
		.amdhsa_exception_fp_denorm_src 0
		.amdhsa_exception_fp_ieee_div_zero 0
		.amdhsa_exception_fp_ieee_overflow 0
		.amdhsa_exception_fp_ieee_underflow 0
		.amdhsa_exception_fp_ieee_inexact 0
		.amdhsa_exception_int_div_zero 0
	.end_amdhsa_kernel
	.section	.text._ZL34rocblas_ger_double_buffered_kernelILb0ELi64ELi16ELi2E19rocblas_complex_numIdE24rocblas_internal_val_ptrIS1_EPKS1_PS1_EvbiiT4_lT5_lllS8_lllT6_lmli,"axG",@progbits,_ZL34rocblas_ger_double_buffered_kernelILb0ELi64ELi16ELi2E19rocblas_complex_numIdE24rocblas_internal_val_ptrIS1_EPKS1_PS1_EvbiiT4_lT5_lllS8_lllT6_lmli,comdat
.Lfunc_end21:
	.size	_ZL34rocblas_ger_double_buffered_kernelILb0ELi64ELi16ELi2E19rocblas_complex_numIdE24rocblas_internal_val_ptrIS1_EPKS1_PS1_EvbiiT4_lT5_lllS8_lllT6_lmli, .Lfunc_end21-_ZL34rocblas_ger_double_buffered_kernelILb0ELi64ELi16ELi2E19rocblas_complex_numIdE24rocblas_internal_val_ptrIS1_EPKS1_PS1_EvbiiT4_lT5_lllS8_lllT6_lmli
                                        ; -- End function
	.set _ZL34rocblas_ger_double_buffered_kernelILb0ELi64ELi16ELi2E19rocblas_complex_numIdE24rocblas_internal_val_ptrIS1_EPKS1_PS1_EvbiiT4_lT5_lllS8_lllT6_lmli.num_vgpr, 58
	.set _ZL34rocblas_ger_double_buffered_kernelILb0ELi64ELi16ELi2E19rocblas_complex_numIdE24rocblas_internal_val_ptrIS1_EPKS1_PS1_EvbiiT4_lT5_lllS8_lllT6_lmli.num_agpr, 0
	.set _ZL34rocblas_ger_double_buffered_kernelILb0ELi64ELi16ELi2E19rocblas_complex_numIdE24rocblas_internal_val_ptrIS1_EPKS1_PS1_EvbiiT4_lT5_lllS8_lllT6_lmli.numbered_sgpr, 43
	.set _ZL34rocblas_ger_double_buffered_kernelILb0ELi64ELi16ELi2E19rocblas_complex_numIdE24rocblas_internal_val_ptrIS1_EPKS1_PS1_EvbiiT4_lT5_lllS8_lllT6_lmli.num_named_barrier, 0
	.set _ZL34rocblas_ger_double_buffered_kernelILb0ELi64ELi16ELi2E19rocblas_complex_numIdE24rocblas_internal_val_ptrIS1_EPKS1_PS1_EvbiiT4_lT5_lllS8_lllT6_lmli.private_seg_size, 0
	.set _ZL34rocblas_ger_double_buffered_kernelILb0ELi64ELi16ELi2E19rocblas_complex_numIdE24rocblas_internal_val_ptrIS1_EPKS1_PS1_EvbiiT4_lT5_lllS8_lllT6_lmli.uses_vcc, 1
	.set _ZL34rocblas_ger_double_buffered_kernelILb0ELi64ELi16ELi2E19rocblas_complex_numIdE24rocblas_internal_val_ptrIS1_EPKS1_PS1_EvbiiT4_lT5_lllS8_lllT6_lmli.uses_flat_scratch, 0
	.set _ZL34rocblas_ger_double_buffered_kernelILb0ELi64ELi16ELi2E19rocblas_complex_numIdE24rocblas_internal_val_ptrIS1_EPKS1_PS1_EvbiiT4_lT5_lllS8_lllT6_lmli.has_dyn_sized_stack, 0
	.set _ZL34rocblas_ger_double_buffered_kernelILb0ELi64ELi16ELi2E19rocblas_complex_numIdE24rocblas_internal_val_ptrIS1_EPKS1_PS1_EvbiiT4_lT5_lllS8_lllT6_lmli.has_recursion, 0
	.set _ZL34rocblas_ger_double_buffered_kernelILb0ELi64ELi16ELi2E19rocblas_complex_numIdE24rocblas_internal_val_ptrIS1_EPKS1_PS1_EvbiiT4_lT5_lllS8_lllT6_lmli.has_indirect_call, 0
	.section	.AMDGPU.csdata,"",@progbits
; Kernel info:
; codeLenInByte = 1000
; TotalNumSgprs: 45
; NumVgprs: 58
; ScratchSize: 0
; MemoryBound: 1
; FloatMode: 240
; IeeeMode: 1
; LDSByteSize: 0 bytes/workgroup (compile time only)
; SGPRBlocks: 0
; VGPRBlocks: 3
; NumSGPRsForWavesPerEU: 45
; NumVGPRsForWavesPerEU: 58
; NamedBarCnt: 0
; Occupancy: 16
; WaveLimiterHint : 0
; COMPUTE_PGM_RSRC2:SCRATCH_EN: 0
; COMPUTE_PGM_RSRC2:USER_SGPR: 2
; COMPUTE_PGM_RSRC2:TRAP_HANDLER: 0
; COMPUTE_PGM_RSRC2:TGID_X_EN: 1
; COMPUTE_PGM_RSRC2:TGID_Y_EN: 1
; COMPUTE_PGM_RSRC2:TGID_Z_EN: 1
; COMPUTE_PGM_RSRC2:TIDIG_COMP_CNT: 1
	.section	.text._ZL26rocblas_sger_gfx942_kernelILi256E19rocblas_complex_numIdEPKS1_S3_PS1_EviiT1_lT2_lllS6_lllT3_lll,"axG",@progbits,_ZL26rocblas_sger_gfx942_kernelILi256E19rocblas_complex_numIdEPKS1_S3_PS1_EviiT1_lT2_lllS6_lllT3_lll,comdat
	.globl	_ZL26rocblas_sger_gfx942_kernelILi256E19rocblas_complex_numIdEPKS1_S3_PS1_EviiT1_lT2_lllS6_lllT3_lll ; -- Begin function _ZL26rocblas_sger_gfx942_kernelILi256E19rocblas_complex_numIdEPKS1_S3_PS1_EviiT1_lT2_lllS6_lllT3_lll
	.p2align	8
	.type	_ZL26rocblas_sger_gfx942_kernelILi256E19rocblas_complex_numIdEPKS1_S3_PS1_EviiT1_lT2_lllS6_lllT3_lll,@function
_ZL26rocblas_sger_gfx942_kernelILi256E19rocblas_complex_numIdEPKS1_S3_PS1_EviiT1_lT2_lllS6_lllT3_lll: ; @_ZL26rocblas_sger_gfx942_kernelILi256E19rocblas_complex_numIdEPKS1_S3_PS1_EviiT1_lT2_lllS6_lllT3_lll
; %bb.0:
	s_endpgm
	.section	.rodata,"a",@progbits
	.p2align	6, 0x0
	.amdhsa_kernel _ZL26rocblas_sger_gfx942_kernelILi256E19rocblas_complex_numIdEPKS1_S3_PS1_EviiT1_lT2_lllS6_lllT3_lll
		.amdhsa_group_segment_fixed_size 0
		.amdhsa_private_segment_fixed_size 0
		.amdhsa_kernarg_size 120
		.amdhsa_user_sgpr_count 2
		.amdhsa_user_sgpr_dispatch_ptr 0
		.amdhsa_user_sgpr_queue_ptr 0
		.amdhsa_user_sgpr_kernarg_segment_ptr 1
		.amdhsa_user_sgpr_dispatch_id 0
		.amdhsa_user_sgpr_kernarg_preload_length 0
		.amdhsa_user_sgpr_kernarg_preload_offset 0
		.amdhsa_user_sgpr_private_segment_size 0
		.amdhsa_wavefront_size32 1
		.amdhsa_uses_dynamic_stack 0
		.amdhsa_enable_private_segment 0
		.amdhsa_system_sgpr_workgroup_id_x 1
		.amdhsa_system_sgpr_workgroup_id_y 0
		.amdhsa_system_sgpr_workgroup_id_z 0
		.amdhsa_system_sgpr_workgroup_info 0
		.amdhsa_system_vgpr_workitem_id 0
		.amdhsa_next_free_vgpr 1
		.amdhsa_next_free_sgpr 1
		.amdhsa_named_barrier_count 0
		.amdhsa_reserve_vcc 0
		.amdhsa_float_round_mode_32 0
		.amdhsa_float_round_mode_16_64 0
		.amdhsa_float_denorm_mode_32 3
		.amdhsa_float_denorm_mode_16_64 3
		.amdhsa_fp16_overflow 0
		.amdhsa_memory_ordered 1
		.amdhsa_forward_progress 1
		.amdhsa_inst_pref_size 1
		.amdhsa_round_robin_scheduling 0
		.amdhsa_exception_fp_ieee_invalid_op 0
		.amdhsa_exception_fp_denorm_src 0
		.amdhsa_exception_fp_ieee_div_zero 0
		.amdhsa_exception_fp_ieee_overflow 0
		.amdhsa_exception_fp_ieee_underflow 0
		.amdhsa_exception_fp_ieee_inexact 0
		.amdhsa_exception_int_div_zero 0
	.end_amdhsa_kernel
	.section	.text._ZL26rocblas_sger_gfx942_kernelILi256E19rocblas_complex_numIdEPKS1_S3_PS1_EviiT1_lT2_lllS6_lllT3_lll,"axG",@progbits,_ZL26rocblas_sger_gfx942_kernelILi256E19rocblas_complex_numIdEPKS1_S3_PS1_EviiT1_lT2_lllS6_lllT3_lll,comdat
.Lfunc_end22:
	.size	_ZL26rocblas_sger_gfx942_kernelILi256E19rocblas_complex_numIdEPKS1_S3_PS1_EviiT1_lT2_lllS6_lllT3_lll, .Lfunc_end22-_ZL26rocblas_sger_gfx942_kernelILi256E19rocblas_complex_numIdEPKS1_S3_PS1_EviiT1_lT2_lllS6_lllT3_lll
                                        ; -- End function
	.set _ZL26rocblas_sger_gfx942_kernelILi256E19rocblas_complex_numIdEPKS1_S3_PS1_EviiT1_lT2_lllS6_lllT3_lll.num_vgpr, 0
	.set _ZL26rocblas_sger_gfx942_kernelILi256E19rocblas_complex_numIdEPKS1_S3_PS1_EviiT1_lT2_lllS6_lllT3_lll.num_agpr, 0
	.set _ZL26rocblas_sger_gfx942_kernelILi256E19rocblas_complex_numIdEPKS1_S3_PS1_EviiT1_lT2_lllS6_lllT3_lll.numbered_sgpr, 0
	.set _ZL26rocblas_sger_gfx942_kernelILi256E19rocblas_complex_numIdEPKS1_S3_PS1_EviiT1_lT2_lllS6_lllT3_lll.num_named_barrier, 0
	.set _ZL26rocblas_sger_gfx942_kernelILi256E19rocblas_complex_numIdEPKS1_S3_PS1_EviiT1_lT2_lllS6_lllT3_lll.private_seg_size, 0
	.set _ZL26rocblas_sger_gfx942_kernelILi256E19rocblas_complex_numIdEPKS1_S3_PS1_EviiT1_lT2_lllS6_lllT3_lll.uses_vcc, 0
	.set _ZL26rocblas_sger_gfx942_kernelILi256E19rocblas_complex_numIdEPKS1_S3_PS1_EviiT1_lT2_lllS6_lllT3_lll.uses_flat_scratch, 0
	.set _ZL26rocblas_sger_gfx942_kernelILi256E19rocblas_complex_numIdEPKS1_S3_PS1_EviiT1_lT2_lllS6_lllT3_lll.has_dyn_sized_stack, 0
	.set _ZL26rocblas_sger_gfx942_kernelILi256E19rocblas_complex_numIdEPKS1_S3_PS1_EviiT1_lT2_lllS6_lllT3_lll.has_recursion, 0
	.set _ZL26rocblas_sger_gfx942_kernelILi256E19rocblas_complex_numIdEPKS1_S3_PS1_EviiT1_lT2_lllS6_lllT3_lll.has_indirect_call, 0
	.section	.AMDGPU.csdata,"",@progbits
; Kernel info:
; codeLenInByte = 4
; TotalNumSgprs: 0
; NumVgprs: 0
; ScratchSize: 0
; MemoryBound: 0
; FloatMode: 240
; IeeeMode: 1
; LDSByteSize: 0 bytes/workgroup (compile time only)
; SGPRBlocks: 0
; VGPRBlocks: 0
; NumSGPRsForWavesPerEU: 1
; NumVGPRsForWavesPerEU: 1
; NamedBarCnt: 0
; Occupancy: 16
; WaveLimiterHint : 0
; COMPUTE_PGM_RSRC2:SCRATCH_EN: 0
; COMPUTE_PGM_RSRC2:USER_SGPR: 2
; COMPUTE_PGM_RSRC2:TRAP_HANDLER: 0
; COMPUTE_PGM_RSRC2:TGID_X_EN: 1
; COMPUTE_PGM_RSRC2:TGID_Y_EN: 0
; COMPUTE_PGM_RSRC2:TGID_Z_EN: 0
; COMPUTE_PGM_RSRC2:TIDIG_COMP_CNT: 0
	.section	.text._ZL26rocblas_sger_gfx942_kernelILi256E19rocblas_complex_numIdES1_PKS1_PS1_EviiT1_lT2_lllS6_lllT3_lll,"axG",@progbits,_ZL26rocblas_sger_gfx942_kernelILi256E19rocblas_complex_numIdES1_PKS1_PS1_EviiT1_lT2_lllS6_lllT3_lll,comdat
	.globl	_ZL26rocblas_sger_gfx942_kernelILi256E19rocblas_complex_numIdES1_PKS1_PS1_EviiT1_lT2_lllS6_lllT3_lll ; -- Begin function _ZL26rocblas_sger_gfx942_kernelILi256E19rocblas_complex_numIdES1_PKS1_PS1_EviiT1_lT2_lllS6_lllT3_lll
	.p2align	8
	.type	_ZL26rocblas_sger_gfx942_kernelILi256E19rocblas_complex_numIdES1_PKS1_PS1_EviiT1_lT2_lllS6_lllT3_lll,@function
_ZL26rocblas_sger_gfx942_kernelILi256E19rocblas_complex_numIdES1_PKS1_PS1_EviiT1_lT2_lllS6_lllT3_lll: ; @_ZL26rocblas_sger_gfx942_kernelILi256E19rocblas_complex_numIdES1_PKS1_PS1_EviiT1_lT2_lllS6_lllT3_lll
; %bb.0:
	s_endpgm
	.section	.rodata,"a",@progbits
	.p2align	6, 0x0
	.amdhsa_kernel _ZL26rocblas_sger_gfx942_kernelILi256E19rocblas_complex_numIdES1_PKS1_PS1_EviiT1_lT2_lllS6_lllT3_lll
		.amdhsa_group_segment_fixed_size 0
		.amdhsa_private_segment_fixed_size 0
		.amdhsa_kernarg_size 128
		.amdhsa_user_sgpr_count 2
		.amdhsa_user_sgpr_dispatch_ptr 0
		.amdhsa_user_sgpr_queue_ptr 0
		.amdhsa_user_sgpr_kernarg_segment_ptr 1
		.amdhsa_user_sgpr_dispatch_id 0
		.amdhsa_user_sgpr_kernarg_preload_length 0
		.amdhsa_user_sgpr_kernarg_preload_offset 0
		.amdhsa_user_sgpr_private_segment_size 0
		.amdhsa_wavefront_size32 1
		.amdhsa_uses_dynamic_stack 0
		.amdhsa_enable_private_segment 0
		.amdhsa_system_sgpr_workgroup_id_x 1
		.amdhsa_system_sgpr_workgroup_id_y 0
		.amdhsa_system_sgpr_workgroup_id_z 0
		.amdhsa_system_sgpr_workgroup_info 0
		.amdhsa_system_vgpr_workitem_id 0
		.amdhsa_next_free_vgpr 1
		.amdhsa_next_free_sgpr 1
		.amdhsa_named_barrier_count 0
		.amdhsa_reserve_vcc 0
		.amdhsa_float_round_mode_32 0
		.amdhsa_float_round_mode_16_64 0
		.amdhsa_float_denorm_mode_32 3
		.amdhsa_float_denorm_mode_16_64 3
		.amdhsa_fp16_overflow 0
		.amdhsa_memory_ordered 1
		.amdhsa_forward_progress 1
		.amdhsa_inst_pref_size 1
		.amdhsa_round_robin_scheduling 0
		.amdhsa_exception_fp_ieee_invalid_op 0
		.amdhsa_exception_fp_denorm_src 0
		.amdhsa_exception_fp_ieee_div_zero 0
		.amdhsa_exception_fp_ieee_overflow 0
		.amdhsa_exception_fp_ieee_underflow 0
		.amdhsa_exception_fp_ieee_inexact 0
		.amdhsa_exception_int_div_zero 0
	.end_amdhsa_kernel
	.section	.text._ZL26rocblas_sger_gfx942_kernelILi256E19rocblas_complex_numIdES1_PKS1_PS1_EviiT1_lT2_lllS6_lllT3_lll,"axG",@progbits,_ZL26rocblas_sger_gfx942_kernelILi256E19rocblas_complex_numIdES1_PKS1_PS1_EviiT1_lT2_lllS6_lllT3_lll,comdat
.Lfunc_end23:
	.size	_ZL26rocblas_sger_gfx942_kernelILi256E19rocblas_complex_numIdES1_PKS1_PS1_EviiT1_lT2_lllS6_lllT3_lll, .Lfunc_end23-_ZL26rocblas_sger_gfx942_kernelILi256E19rocblas_complex_numIdES1_PKS1_PS1_EviiT1_lT2_lllS6_lllT3_lll
                                        ; -- End function
	.set _ZL26rocblas_sger_gfx942_kernelILi256E19rocblas_complex_numIdES1_PKS1_PS1_EviiT1_lT2_lllS6_lllT3_lll.num_vgpr, 0
	.set _ZL26rocblas_sger_gfx942_kernelILi256E19rocblas_complex_numIdES1_PKS1_PS1_EviiT1_lT2_lllS6_lllT3_lll.num_agpr, 0
	.set _ZL26rocblas_sger_gfx942_kernelILi256E19rocblas_complex_numIdES1_PKS1_PS1_EviiT1_lT2_lllS6_lllT3_lll.numbered_sgpr, 0
	.set _ZL26rocblas_sger_gfx942_kernelILi256E19rocblas_complex_numIdES1_PKS1_PS1_EviiT1_lT2_lllS6_lllT3_lll.num_named_barrier, 0
	.set _ZL26rocblas_sger_gfx942_kernelILi256E19rocblas_complex_numIdES1_PKS1_PS1_EviiT1_lT2_lllS6_lllT3_lll.private_seg_size, 0
	.set _ZL26rocblas_sger_gfx942_kernelILi256E19rocblas_complex_numIdES1_PKS1_PS1_EviiT1_lT2_lllS6_lllT3_lll.uses_vcc, 0
	.set _ZL26rocblas_sger_gfx942_kernelILi256E19rocblas_complex_numIdES1_PKS1_PS1_EviiT1_lT2_lllS6_lllT3_lll.uses_flat_scratch, 0
	.set _ZL26rocblas_sger_gfx942_kernelILi256E19rocblas_complex_numIdES1_PKS1_PS1_EviiT1_lT2_lllS6_lllT3_lll.has_dyn_sized_stack, 0
	.set _ZL26rocblas_sger_gfx942_kernelILi256E19rocblas_complex_numIdES1_PKS1_PS1_EviiT1_lT2_lllS6_lllT3_lll.has_recursion, 0
	.set _ZL26rocblas_sger_gfx942_kernelILi256E19rocblas_complex_numIdES1_PKS1_PS1_EviiT1_lT2_lllS6_lllT3_lll.has_indirect_call, 0
	.section	.AMDGPU.csdata,"",@progbits
; Kernel info:
; codeLenInByte = 4
; TotalNumSgprs: 0
; NumVgprs: 0
; ScratchSize: 0
; MemoryBound: 0
; FloatMode: 240
; IeeeMode: 1
; LDSByteSize: 0 bytes/workgroup (compile time only)
; SGPRBlocks: 0
; VGPRBlocks: 0
; NumSGPRsForWavesPerEU: 1
; NumVGPRsForWavesPerEU: 1
; NamedBarCnt: 0
; Occupancy: 16
; WaveLimiterHint : 0
; COMPUTE_PGM_RSRC2:SCRATCH_EN: 0
; COMPUTE_PGM_RSRC2:USER_SGPR: 2
; COMPUTE_PGM_RSRC2:TRAP_HANDLER: 0
; COMPUTE_PGM_RSRC2:TGID_X_EN: 1
; COMPUTE_PGM_RSRC2:TGID_Y_EN: 0
; COMPUTE_PGM_RSRC2:TGID_Z_EN: 0
; COMPUTE_PGM_RSRC2:TIDIG_COMP_CNT: 0
	.section	.text._ZL19rocblas_sger_kernelILi1024E19rocblas_complex_numIdEPKS1_S3_PS1_EviiT1_lT2_lllS6_lllT3_lmli,"axG",@progbits,_ZL19rocblas_sger_kernelILi1024E19rocblas_complex_numIdEPKS1_S3_PS1_EviiT1_lT2_lllS6_lllT3_lmli,comdat
	.globl	_ZL19rocblas_sger_kernelILi1024E19rocblas_complex_numIdEPKS1_S3_PS1_EviiT1_lT2_lllS6_lllT3_lmli ; -- Begin function _ZL19rocblas_sger_kernelILi1024E19rocblas_complex_numIdEPKS1_S3_PS1_EviiT1_lT2_lllS6_lllT3_lmli
	.p2align	8
	.type	_ZL19rocblas_sger_kernelILi1024E19rocblas_complex_numIdEPKS1_S3_PS1_EviiT1_lT2_lllS6_lllT3_lmli,@function
_ZL19rocblas_sger_kernelILi1024E19rocblas_complex_numIdEPKS1_S3_PS1_EviiT1_lT2_lllS6_lllT3_lmli: ; @_ZL19rocblas_sger_kernelILi1024E19rocblas_complex_numIdEPKS1_S3_PS1_EviiT1_lT2_lllS6_lllT3_lmli
; %bb.0:
	s_load_b32 s22, s[0:1], 0x78
	s_bfe_u32 s2, ttmp6, 0x40014
	s_lshr_b32 s3, ttmp7, 16
	s_add_co_i32 s2, s2, 1
	s_bfe_u32 s4, ttmp6, 0x40008
	s_mul_i32 s2, s3, s2
	s_getreg_b32 s12, hwreg(HW_REG_IB_STS2, 6, 4)
	s_add_co_i32 s4, s4, s2
	s_cmp_eq_u32 s12, 0
	s_cselect_b32 s2, s3, s4
	s_mov_b32 s3, 0
	s_wait_kmcnt 0x0
	s_cmp_ge_u32 s2, s22
	s_cbranch_scc1 .LBB24_8
; %bb.1:
	s_clause 0x3
	s_load_b256 s[24:31], s[0:1], 0x30
	s_load_b32 s23, s[0:1], 0x0
	s_load_b256 s[4:11], s[0:1], 0x50
	s_load_b128 s[16:19], s[0:1], 0x20
	s_bfe_u32 s13, ttmp6, 0x4000c
	s_and_b32 s14, ttmp6, 15
	s_add_co_i32 s13, s13, 1
	s_load_b64 s[20:21], s[0:1], 0x18
	s_mul_i32 s13, ttmp9, s13
	s_load_b64 s[36:37], s[0:1], 0x70
	s_add_co_i32 s33, s14, s13
	s_wait_kmcnt 0x0
	s_lshl_b64 s[28:29], s[28:29], 4
	s_cmp_eq_u32 s12, 0
	s_load_b128 s[12:15], s[0:1], 0x8
	s_wait_xcnt 0x0
	v_cmp_gt_i32_e64 s0, s23, v0
	v_mov_b32_e32 v3, 0
	s_cselect_b32 s34, ttmp9, s33
	s_lshl_b64 s[8:9], s[8:9], 4
	s_ashr_i32 s35, s34, 31
	s_delay_alu instid0(VALU_DEP_1) | instskip(SKIP_1) | instid1(SALU_CYCLE_1)
	v_mov_b32_e32 v1, v3
	s_mul_u64 s[10:11], s[10:11], s[34:35]
	s_lshl_b64 s[10:11], s[10:11], 4
	s_delay_alu instid0(VALU_DEP_1)
	v_mul_u64_e32 v[4:5], s[18:19], v[0:1]
	v_cndmask_b32_e64 v1, 0, v0, s0
	s_add_nc_u64 s[8:9], s[10:11], s[8:9]
	s_lshl_b64 s[18:19], s[18:19], 14
	s_add_nc_u64 s[6:7], s[6:7], s[8:9]
	s_lshl_b64 s[8:9], s[16:17], 4
	v_lshlrev_b32_e32 v2, 4, v1
	s_lshl_b64 s[16:17], s[36:37], 4
	s_delay_alu instid0(VALU_DEP_1) | instskip(SKIP_3) | instid1(VALU_DEP_1)
	v_add_nc_u64_e32 v[2:3], s[6:7], v[2:3]
	s_add_nc_u64 s[6:7], s[20:21], s[8:9]
	s_add_nc_u64 s[8:9], s[26:27], s[28:29]
	s_lshl_b64 s[20:21], s[24:25], 4
	v_add_nc_u64_e32 v[2:3], 8, v[2:3]
	v_lshl_add_u64 v[4:5], v[4:5], 4, s[6:7]
	s_mul_u64 s[6:7], s[30:31], s[34:35]
	s_delay_alu instid0(SALU_CYCLE_1) | instskip(NEXT) | instid1(VALU_DEP_1)
	s_lshl_b64 s[6:7], s[6:7], 4
	v_add_nc_u64_e32 v[4:5], 8, v[4:5]
	s_add_nc_u64 s[6:7], s[8:9], s[6:7]
	s_branch .LBB24_4
.LBB24_2:                               ;   in Loop: Header=BB24_4 Depth=1
	s_or_b32 exec_lo, exec_lo, s1
.LBB24_3:                               ;   in Loop: Header=BB24_4 Depth=1
	s_add_co_i32 s2, s2, 0x10000
	s_delay_alu instid0(SALU_CYCLE_1)
	s_cmp_lt_u32 s2, s22
	s_cbranch_scc0 .LBB24_8
.LBB24_4:                               ; =>This Loop Header: Depth=1
                                        ;     Child Loop BB24_7 Depth 2
	s_wait_kmcnt 0x0
	s_mul_u64 s[8:9], s[14:15], s[2:3]
	s_delay_alu instid0(SALU_CYCLE_1) | instskip(NEXT) | instid1(SALU_CYCLE_1)
	s_lshl_b64 s[8:9], s[8:9], 4
	s_add_nc_u64 s[24:25], s[12:13], s[8:9]
	s_load_b128 s[8:11], s[24:25], 0x0
	s_wait_kmcnt 0x0
	v_cmp_neq_f64_e64 s1, s[8:9], 0
	s_wait_xcnt 0x0
	v_cmp_neq_f64_e64 s24, s[10:11], 0
	s_or_b32 s1, s1, s24
	s_delay_alu instid0(SALU_CYCLE_1)
	s_and_not1_b32 vcc_lo, exec_lo, s1
	s_cbranch_vccnz .LBB24_3
; %bb.5:                                ;   in Loop: Header=BB24_4 Depth=1
	s_and_saveexec_b32 s1, s0
	s_cbranch_execz .LBB24_2
; %bb.6:                                ;   in Loop: Header=BB24_4 Depth=1
	s_mul_u64 s[24:25], s[4:5], s[2:3]
	v_mad_nc_u64_u32 v[10:11], s16, s2, v[2:3]
	s_lshl_b64 s[24:25], s[24:25], 4
	v_mad_nc_u64_u32 v[12:13], s20, s2, v[4:5]
	s_add_nc_u64 s[28:29], s[6:7], s[24:25]
	v_mov_b32_e32 v1, v0
	s_load_b128 s[24:27], s[28:29], 0x0
	s_delay_alu instid0(VALU_DEP_3) | instskip(NEXT) | instid1(VALU_DEP_3)
	v_mad_u32 v11, s17, s2, v11
	v_mad_u32 v13, s21, s2, v13
	s_wait_kmcnt 0x0
	v_mul_f64_e64 v[8:9], s[10:11], s[26:27]
	v_mul_f64_e64 v[6:7], s[8:9], s[26:27]
	s_delay_alu instid0(VALU_DEP_2) | instskip(NEXT) | instid1(VALU_DEP_2)
	v_fma_f64 v[8:9], s[8:9], s[24:25], -v[8:9]
	v_fmac_f64_e64 v[6:7], s[10:11], s[24:25]
	s_mov_b32 s8, 0
.LBB24_7:                               ;   Parent Loop BB24_4 Depth=1
                                        ; =>  This Inner Loop Header: Depth=2
	global_load_b128 v[14:17], v[12:13], off offset:-8
	global_load_b128 v[18:21], v[10:11], off offset:-8
	v_add_nc_u32_e32 v1, 0x400, v1
	s_wait_xcnt 0x1
	v_add_nc_u64_e32 v[12:13], s[18:19], v[12:13]
	s_delay_alu instid0(VALU_DEP_2) | instskip(SKIP_4) | instid1(VALU_DEP_2)
	v_cmp_le_i32_e32 vcc_lo, s23, v1
	s_or_b32 s8, vcc_lo, s8
	s_wait_loadcnt 0x1
	v_mul_f64_e32 v[22:23], v[6:7], v[16:17]
	v_mul_f64_e32 v[16:17], v[8:9], v[16:17]
	v_fma_f64 v[22:23], v[8:9], v[14:15], -v[22:23]
	s_delay_alu instid0(VALU_DEP_2) | instskip(SKIP_1) | instid1(VALU_DEP_2)
	v_fmac_f64_e32 v[16:17], v[6:7], v[14:15]
	s_wait_loadcnt 0x0
	v_add_f64_e32 v[14:15], v[18:19], v[22:23]
	s_delay_alu instid0(VALU_DEP_2)
	v_add_f64_e32 v[16:17], v[16:17], v[20:21]
	global_store_b128 v[10:11], v[14:17], off offset:-8
	s_wait_xcnt 0x0
	v_add_nc_u64_e32 v[10:11], 0x4000, v[10:11]
	s_and_not1_b32 exec_lo, exec_lo, s8
	s_cbranch_execnz .LBB24_7
	s_branch .LBB24_2
.LBB24_8:
	s_endpgm
	.section	.rodata,"a",@progbits
	.p2align	6, 0x0
	.amdhsa_kernel _ZL19rocblas_sger_kernelILi1024E19rocblas_complex_numIdEPKS1_S3_PS1_EviiT1_lT2_lllS6_lllT3_lmli
		.amdhsa_group_segment_fixed_size 0
		.amdhsa_private_segment_fixed_size 0
		.amdhsa_kernarg_size 124
		.amdhsa_user_sgpr_count 2
		.amdhsa_user_sgpr_dispatch_ptr 0
		.amdhsa_user_sgpr_queue_ptr 0
		.amdhsa_user_sgpr_kernarg_segment_ptr 1
		.amdhsa_user_sgpr_dispatch_id 0
		.amdhsa_user_sgpr_kernarg_preload_length 0
		.amdhsa_user_sgpr_kernarg_preload_offset 0
		.amdhsa_user_sgpr_private_segment_size 0
		.amdhsa_wavefront_size32 1
		.amdhsa_uses_dynamic_stack 0
		.amdhsa_enable_private_segment 0
		.amdhsa_system_sgpr_workgroup_id_x 1
		.amdhsa_system_sgpr_workgroup_id_y 0
		.amdhsa_system_sgpr_workgroup_id_z 1
		.amdhsa_system_sgpr_workgroup_info 0
		.amdhsa_system_vgpr_workitem_id 0
		.amdhsa_next_free_vgpr 24
		.amdhsa_next_free_sgpr 38
		.amdhsa_named_barrier_count 0
		.amdhsa_reserve_vcc 1
		.amdhsa_float_round_mode_32 0
		.amdhsa_float_round_mode_16_64 0
		.amdhsa_float_denorm_mode_32 3
		.amdhsa_float_denorm_mode_16_64 3
		.amdhsa_fp16_overflow 0
		.amdhsa_memory_ordered 1
		.amdhsa_forward_progress 1
		.amdhsa_inst_pref_size 6
		.amdhsa_round_robin_scheduling 0
		.amdhsa_exception_fp_ieee_invalid_op 0
		.amdhsa_exception_fp_denorm_src 0
		.amdhsa_exception_fp_ieee_div_zero 0
		.amdhsa_exception_fp_ieee_overflow 0
		.amdhsa_exception_fp_ieee_underflow 0
		.amdhsa_exception_fp_ieee_inexact 0
		.amdhsa_exception_int_div_zero 0
	.end_amdhsa_kernel
	.section	.text._ZL19rocblas_sger_kernelILi1024E19rocblas_complex_numIdEPKS1_S3_PS1_EviiT1_lT2_lllS6_lllT3_lmli,"axG",@progbits,_ZL19rocblas_sger_kernelILi1024E19rocblas_complex_numIdEPKS1_S3_PS1_EviiT1_lT2_lllS6_lllT3_lmli,comdat
.Lfunc_end24:
	.size	_ZL19rocblas_sger_kernelILi1024E19rocblas_complex_numIdEPKS1_S3_PS1_EviiT1_lT2_lllS6_lllT3_lmli, .Lfunc_end24-_ZL19rocblas_sger_kernelILi1024E19rocblas_complex_numIdEPKS1_S3_PS1_EviiT1_lT2_lllS6_lllT3_lmli
                                        ; -- End function
	.set _ZL19rocblas_sger_kernelILi1024E19rocblas_complex_numIdEPKS1_S3_PS1_EviiT1_lT2_lllS6_lllT3_lmli.num_vgpr, 24
	.set _ZL19rocblas_sger_kernelILi1024E19rocblas_complex_numIdEPKS1_S3_PS1_EviiT1_lT2_lllS6_lllT3_lmli.num_agpr, 0
	.set _ZL19rocblas_sger_kernelILi1024E19rocblas_complex_numIdEPKS1_S3_PS1_EviiT1_lT2_lllS6_lllT3_lmli.numbered_sgpr, 38
	.set _ZL19rocblas_sger_kernelILi1024E19rocblas_complex_numIdEPKS1_S3_PS1_EviiT1_lT2_lllS6_lllT3_lmli.num_named_barrier, 0
	.set _ZL19rocblas_sger_kernelILi1024E19rocblas_complex_numIdEPKS1_S3_PS1_EviiT1_lT2_lllS6_lllT3_lmli.private_seg_size, 0
	.set _ZL19rocblas_sger_kernelILi1024E19rocblas_complex_numIdEPKS1_S3_PS1_EviiT1_lT2_lllS6_lllT3_lmli.uses_vcc, 1
	.set _ZL19rocblas_sger_kernelILi1024E19rocblas_complex_numIdEPKS1_S3_PS1_EviiT1_lT2_lllS6_lllT3_lmli.uses_flat_scratch, 0
	.set _ZL19rocblas_sger_kernelILi1024E19rocblas_complex_numIdEPKS1_S3_PS1_EviiT1_lT2_lllS6_lllT3_lmli.has_dyn_sized_stack, 0
	.set _ZL19rocblas_sger_kernelILi1024E19rocblas_complex_numIdEPKS1_S3_PS1_EviiT1_lT2_lllS6_lllT3_lmli.has_recursion, 0
	.set _ZL19rocblas_sger_kernelILi1024E19rocblas_complex_numIdEPKS1_S3_PS1_EviiT1_lT2_lllS6_lllT3_lmli.has_indirect_call, 0
	.section	.AMDGPU.csdata,"",@progbits
; Kernel info:
; codeLenInByte = 644
; TotalNumSgprs: 40
; NumVgprs: 24
; ScratchSize: 0
; MemoryBound: 0
; FloatMode: 240
; IeeeMode: 1
; LDSByteSize: 0 bytes/workgroup (compile time only)
; SGPRBlocks: 0
; VGPRBlocks: 1
; NumSGPRsForWavesPerEU: 40
; NumVGPRsForWavesPerEU: 24
; NamedBarCnt: 0
; Occupancy: 16
; WaveLimiterHint : 0
; COMPUTE_PGM_RSRC2:SCRATCH_EN: 0
; COMPUTE_PGM_RSRC2:USER_SGPR: 2
; COMPUTE_PGM_RSRC2:TRAP_HANDLER: 0
; COMPUTE_PGM_RSRC2:TGID_X_EN: 1
; COMPUTE_PGM_RSRC2:TGID_Y_EN: 0
; COMPUTE_PGM_RSRC2:TGID_Z_EN: 1
; COMPUTE_PGM_RSRC2:TIDIG_COMP_CNT: 0
	.section	.text._ZL19rocblas_sger_kernelILi1024E19rocblas_complex_numIdES1_PKS1_PS1_EviiT1_lT2_lllS6_lllT3_lmli,"axG",@progbits,_ZL19rocblas_sger_kernelILi1024E19rocblas_complex_numIdES1_PKS1_PS1_EviiT1_lT2_lllS6_lllT3_lmli,comdat
	.globl	_ZL19rocblas_sger_kernelILi1024E19rocblas_complex_numIdES1_PKS1_PS1_EviiT1_lT2_lllS6_lllT3_lmli ; -- Begin function _ZL19rocblas_sger_kernelILi1024E19rocblas_complex_numIdES1_PKS1_PS1_EviiT1_lT2_lllS6_lllT3_lmli
	.p2align	8
	.type	_ZL19rocblas_sger_kernelILi1024E19rocblas_complex_numIdES1_PKS1_PS1_EviiT1_lT2_lllS6_lllT3_lmli,@function
_ZL19rocblas_sger_kernelILi1024E19rocblas_complex_numIdES1_PKS1_PS1_EviiT1_lT2_lllS6_lllT3_lmli: ; @_ZL19rocblas_sger_kernelILi1024E19rocblas_complex_numIdES1_PKS1_PS1_EviiT1_lT2_lllS6_lllT3_lmli
; %bb.0:
	s_load_b32 s3, s[0:1], 0x80
	s_bfe_u32 s2, ttmp6, 0x40014
	s_lshr_b32 s4, ttmp7, 16
	s_add_co_i32 s2, s2, 1
	s_bfe_u32 s6, ttmp6, 0x40008
	s_mul_i32 s5, s4, s2
	s_getreg_b32 s2, hwreg(HW_REG_IB_STS2, 6, 4)
	s_add_co_i32 s6, s6, s5
	s_cmp_eq_u32 s2, 0
	s_mov_b32 s21, 0
	s_cselect_b32 s20, s4, s6
	s_wait_kmcnt 0x0
	s_cmp_ge_u32 s20, s3
	s_cbranch_scc1 .LBB25_8
; %bb.1:
	s_clause 0x3
	s_load_b128 s[12:15], s[0:1], 0x8
	s_load_b128 s[16:19], s[0:1], 0x28
	s_load_b256 s[24:31], s[0:1], 0x38
	s_load_b32 s22, s[0:1], 0x0
	s_bfe_u32 s34, ttmp6, 0x4000c
	s_and_b32 s36, ttmp6, 15
	s_add_co_i32 s34, s34, 1
	s_load_b256 s[4:11], s[0:1], 0x58
	s_mul_i32 s37, ttmp9, s34
	s_load_b64 s[34:35], s[0:1], 0x20
	s_add_co_i32 s36, s36, s37
	s_load_b64 s[38:39], s[0:1], 0x78
	s_wait_kmcnt 0x0
	v_cmp_neq_f64_e64 s23, s[12:13], 0
	v_cmp_neq_f64_e64 s33, s[14:15], 0
	s_lshl_b64 s[28:29], s[28:29], 4
	s_or_b32 s23, s23, s33
	s_cmp_eq_u32 s2, 0
	v_cmp_gt_i32_e64 s2, s22, v0
	v_mov_b32_e32 v3, 0
	s_cselect_b32 s36, ttmp9, s36
	s_lshl_b64 s[8:9], s[8:9], 4
	s_ashr_i32 s37, s36, 31
	s_delay_alu instid0(VALU_DEP_1) | instskip(SKIP_3) | instid1(VALU_DEP_1)
	v_mov_b32_e32 v1, v3
	s_mul_u64 s[0:1], s[10:11], s[36:37]
	s_lshl_b64 s[10:11], s[18:19], 14
	s_lshl_b64 s[0:1], s[0:1], 4
	v_mul_u64_e32 v[4:5], s[18:19], v[0:1]
	v_cndmask_b32_e64 v1, 0, v0, s2
	s_add_nc_u64 s[0:1], s[0:1], s[8:9]
	s_lshl_b64 s[8:9], s[24:25], 4
	s_add_nc_u64 s[0:1], s[6:7], s[0:1]
	s_lshl_b64 s[6:7], s[16:17], 4
	v_lshlrev_b32_e32 v2, 4, v1
	s_delay_alu instid0(VALU_DEP_1) | instskip(SKIP_2) | instid1(VALU_DEP_1)
	v_add_nc_u64_e32 v[2:3], s[0:1], v[2:3]
	s_add_nc_u64 s[0:1], s[34:35], s[6:7]
	s_add_nc_u64 s[6:7], s[26:27], s[28:29]
	v_add_nc_u64_e32 v[2:3], 8, v[2:3]
	v_lshl_add_u64 v[4:5], v[4:5], 4, s[0:1]
	s_mul_u64 s[0:1], s[30:31], s[36:37]
	s_delay_alu instid0(SALU_CYCLE_1) | instskip(NEXT) | instid1(VALU_DEP_1)
	s_lshl_b64 s[0:1], s[0:1], 4
	v_add_nc_u64_e32 v[4:5], 8, v[4:5]
	s_add_nc_u64 s[0:1], s[6:7], s[0:1]
	s_lshl_b64 s[6:7], s[38:39], 4
	s_branch .LBB25_4
.LBB25_2:                               ;   in Loop: Header=BB25_4 Depth=1
	s_or_b32 exec_lo, exec_lo, s16
.LBB25_3:                               ;   in Loop: Header=BB25_4 Depth=1
	s_add_co_i32 s20, s20, 0x10000
	s_delay_alu instid0(SALU_CYCLE_1)
	s_cmp_lt_u32 s20, s3
	s_cbranch_scc0 .LBB25_8
.LBB25_4:                               ; =>This Loop Header: Depth=1
                                        ;     Child Loop BB25_7 Depth 2
	s_and_not1_b32 vcc_lo, exec_lo, s23
	s_cbranch_vccnz .LBB25_3
; %bb.5:                                ;   in Loop: Header=BB25_4 Depth=1
	s_and_saveexec_b32 s16, s2
	s_cbranch_execz .LBB25_2
; %bb.6:                                ;   in Loop: Header=BB25_4 Depth=1
	s_mul_u64 s[18:19], s[4:5], s[20:21]
	v_mad_nc_u64_u32 v[10:11], s6, s20, v[2:3]
	s_lshl_b64 s[18:19], s[18:19], 4
	v_mad_nc_u64_u32 v[12:13], s8, s20, v[4:5]
	s_add_nc_u64 s[18:19], s[0:1], s[18:19]
	v_mov_b32_e32 v1, v0
	s_load_b128 s[24:27], s[18:19], 0x0
	s_mov_b32 s17, 0
	s_delay_alu instid0(VALU_DEP_3) | instskip(NEXT) | instid1(VALU_DEP_3)
	v_mad_u32 v11, s7, s20, v11
	v_mad_u32 v13, s9, s20, v13
	s_wait_kmcnt 0x0
	v_mul_f64_e64 v[8:9], s[14:15], s[26:27]
	v_mul_f64_e64 v[6:7], s[12:13], s[26:27]
	s_delay_alu instid0(VALU_DEP_2) | instskip(NEXT) | instid1(VALU_DEP_2)
	v_fma_f64 v[8:9], s[12:13], s[24:25], -v[8:9]
	v_fmac_f64_e64 v[6:7], s[14:15], s[24:25]
.LBB25_7:                               ;   Parent Loop BB25_4 Depth=1
                                        ; =>  This Inner Loop Header: Depth=2
	global_load_b128 v[14:17], v[12:13], off offset:-8
	global_load_b128 v[18:21], v[10:11], off offset:-8
	v_add_nc_u32_e32 v1, 0x400, v1
	s_wait_xcnt 0x1
	v_add_nc_u64_e32 v[12:13], s[10:11], v[12:13]
	s_delay_alu instid0(VALU_DEP_2) | instskip(SKIP_4) | instid1(VALU_DEP_2)
	v_cmp_le_i32_e32 vcc_lo, s22, v1
	s_or_b32 s17, vcc_lo, s17
	s_wait_loadcnt 0x1
	v_mul_f64_e32 v[22:23], v[6:7], v[16:17]
	v_mul_f64_e32 v[16:17], v[8:9], v[16:17]
	v_fma_f64 v[22:23], v[8:9], v[14:15], -v[22:23]
	s_delay_alu instid0(VALU_DEP_2) | instskip(SKIP_1) | instid1(VALU_DEP_2)
	v_fmac_f64_e32 v[16:17], v[6:7], v[14:15]
	s_wait_loadcnt 0x0
	v_add_f64_e32 v[14:15], v[18:19], v[22:23]
	s_delay_alu instid0(VALU_DEP_2)
	v_add_f64_e32 v[16:17], v[16:17], v[20:21]
	global_store_b128 v[10:11], v[14:17], off offset:-8
	s_wait_xcnt 0x0
	v_add_nc_u64_e32 v[10:11], 0x4000, v[10:11]
	s_and_not1_b32 exec_lo, exec_lo, s17
	s_cbranch_execnz .LBB25_7
	s_branch .LBB25_2
.LBB25_8:
	s_endpgm
	.section	.rodata,"a",@progbits
	.p2align	6, 0x0
	.amdhsa_kernel _ZL19rocblas_sger_kernelILi1024E19rocblas_complex_numIdES1_PKS1_PS1_EviiT1_lT2_lllS6_lllT3_lmli
		.amdhsa_group_segment_fixed_size 0
		.amdhsa_private_segment_fixed_size 0
		.amdhsa_kernarg_size 132
		.amdhsa_user_sgpr_count 2
		.amdhsa_user_sgpr_dispatch_ptr 0
		.amdhsa_user_sgpr_queue_ptr 0
		.amdhsa_user_sgpr_kernarg_segment_ptr 1
		.amdhsa_user_sgpr_dispatch_id 0
		.amdhsa_user_sgpr_kernarg_preload_length 0
		.amdhsa_user_sgpr_kernarg_preload_offset 0
		.amdhsa_user_sgpr_private_segment_size 0
		.amdhsa_wavefront_size32 1
		.amdhsa_uses_dynamic_stack 0
		.amdhsa_enable_private_segment 0
		.amdhsa_system_sgpr_workgroup_id_x 1
		.amdhsa_system_sgpr_workgroup_id_y 0
		.amdhsa_system_sgpr_workgroup_id_z 1
		.amdhsa_system_sgpr_workgroup_info 0
		.amdhsa_system_vgpr_workitem_id 0
		.amdhsa_next_free_vgpr 24
		.amdhsa_next_free_sgpr 40
		.amdhsa_named_barrier_count 0
		.amdhsa_reserve_vcc 1
		.amdhsa_float_round_mode_32 0
		.amdhsa_float_round_mode_16_64 0
		.amdhsa_float_denorm_mode_32 3
		.amdhsa_float_denorm_mode_16_64 3
		.amdhsa_fp16_overflow 0
		.amdhsa_memory_ordered 1
		.amdhsa_forward_progress 1
		.amdhsa_inst_pref_size 5
		.amdhsa_round_robin_scheduling 0
		.amdhsa_exception_fp_ieee_invalid_op 0
		.amdhsa_exception_fp_denorm_src 0
		.amdhsa_exception_fp_ieee_div_zero 0
		.amdhsa_exception_fp_ieee_overflow 0
		.amdhsa_exception_fp_ieee_underflow 0
		.amdhsa_exception_fp_ieee_inexact 0
		.amdhsa_exception_int_div_zero 0
	.end_amdhsa_kernel
	.section	.text._ZL19rocblas_sger_kernelILi1024E19rocblas_complex_numIdES1_PKS1_PS1_EviiT1_lT2_lllS6_lllT3_lmli,"axG",@progbits,_ZL19rocblas_sger_kernelILi1024E19rocblas_complex_numIdES1_PKS1_PS1_EviiT1_lT2_lllS6_lllT3_lmli,comdat
.Lfunc_end25:
	.size	_ZL19rocblas_sger_kernelILi1024E19rocblas_complex_numIdES1_PKS1_PS1_EviiT1_lT2_lllS6_lllT3_lmli, .Lfunc_end25-_ZL19rocblas_sger_kernelILi1024E19rocblas_complex_numIdES1_PKS1_PS1_EviiT1_lT2_lllS6_lllT3_lmli
                                        ; -- End function
	.set _ZL19rocblas_sger_kernelILi1024E19rocblas_complex_numIdES1_PKS1_PS1_EviiT1_lT2_lllS6_lllT3_lmli.num_vgpr, 24
	.set _ZL19rocblas_sger_kernelILi1024E19rocblas_complex_numIdES1_PKS1_PS1_EviiT1_lT2_lllS6_lllT3_lmli.num_agpr, 0
	.set _ZL19rocblas_sger_kernelILi1024E19rocblas_complex_numIdES1_PKS1_PS1_EviiT1_lT2_lllS6_lllT3_lmli.numbered_sgpr, 40
	.set _ZL19rocblas_sger_kernelILi1024E19rocblas_complex_numIdES1_PKS1_PS1_EviiT1_lT2_lllS6_lllT3_lmli.num_named_barrier, 0
	.set _ZL19rocblas_sger_kernelILi1024E19rocblas_complex_numIdES1_PKS1_PS1_EviiT1_lT2_lllS6_lllT3_lmli.private_seg_size, 0
	.set _ZL19rocblas_sger_kernelILi1024E19rocblas_complex_numIdES1_PKS1_PS1_EviiT1_lT2_lllS6_lllT3_lmli.uses_vcc, 1
	.set _ZL19rocblas_sger_kernelILi1024E19rocblas_complex_numIdES1_PKS1_PS1_EviiT1_lT2_lllS6_lllT3_lmli.uses_flat_scratch, 0
	.set _ZL19rocblas_sger_kernelILi1024E19rocblas_complex_numIdES1_PKS1_PS1_EviiT1_lT2_lllS6_lllT3_lmli.has_dyn_sized_stack, 0
	.set _ZL19rocblas_sger_kernelILi1024E19rocblas_complex_numIdES1_PKS1_PS1_EviiT1_lT2_lllS6_lllT3_lmli.has_recursion, 0
	.set _ZL19rocblas_sger_kernelILi1024E19rocblas_complex_numIdES1_PKS1_PS1_EviiT1_lT2_lllS6_lllT3_lmli.has_indirect_call, 0
	.section	.AMDGPU.csdata,"",@progbits
; Kernel info:
; codeLenInByte = 596
; TotalNumSgprs: 42
; NumVgprs: 24
; ScratchSize: 0
; MemoryBound: 0
; FloatMode: 240
; IeeeMode: 1
; LDSByteSize: 0 bytes/workgroup (compile time only)
; SGPRBlocks: 0
; VGPRBlocks: 1
; NumSGPRsForWavesPerEU: 42
; NumVGPRsForWavesPerEU: 24
; NamedBarCnt: 0
; Occupancy: 16
; WaveLimiterHint : 1
; COMPUTE_PGM_RSRC2:SCRATCH_EN: 0
; COMPUTE_PGM_RSRC2:USER_SGPR: 2
; COMPUTE_PGM_RSRC2:TRAP_HANDLER: 0
; COMPUTE_PGM_RSRC2:TGID_X_EN: 1
; COMPUTE_PGM_RSRC2:TGID_Y_EN: 0
; COMPUTE_PGM_RSRC2:TGID_Z_EN: 1
; COMPUTE_PGM_RSRC2:TIDIG_COMP_CNT: 0
	.section	.text._ZL18rocblas_ger_kernelILi32ELi32ELi2ELb0E19rocblas_complex_numIdEPKS1_S3_PS1_EviiT4_lT5_lllS6_lllT6_lmli,"axG",@progbits,_ZL18rocblas_ger_kernelILi32ELi32ELi2ELb0E19rocblas_complex_numIdEPKS1_S3_PS1_EviiT4_lT5_lllS6_lllT6_lmli,comdat
	.globl	_ZL18rocblas_ger_kernelILi32ELi32ELi2ELb0E19rocblas_complex_numIdEPKS1_S3_PS1_EviiT4_lT5_lllS6_lllT6_lmli ; -- Begin function _ZL18rocblas_ger_kernelILi32ELi32ELi2ELb0E19rocblas_complex_numIdEPKS1_S3_PS1_EviiT4_lT5_lllS6_lllT6_lmli
	.p2align	8
	.type	_ZL18rocblas_ger_kernelILi32ELi32ELi2ELb0E19rocblas_complex_numIdEPKS1_S3_PS1_EviiT4_lT5_lllS6_lllT6_lmli,@function
_ZL18rocblas_ger_kernelILi32ELi32ELi2ELb0E19rocblas_complex_numIdEPKS1_S3_PS1_EviiT4_lT5_lllS6_lllT6_lmli: ; @_ZL18rocblas_ger_kernelILi32ELi32ELi2ELb0E19rocblas_complex_numIdEPKS1_S3_PS1_EviiT4_lT5_lllS6_lllT6_lmli
; %bb.0:
	s_load_b32 s33, s[0:1], 0x78
	s_bfe_u32 s2, ttmp6, 0x40014
	s_lshr_b32 s3, ttmp7, 16
	s_add_co_i32 s2, s2, 1
	s_bfe_u32 s5, ttmp6, 0x40008
	s_mul_i32 s4, s3, s2
	s_getreg_b32 s2, hwreg(HW_REG_IB_STS2, 6, 4)
	s_add_co_i32 s5, s5, s4
	s_cmp_eq_u32 s2, 0
	s_mov_b32 s29, 0
	s_cselect_b32 s28, s3, s5
	s_wait_kmcnt 0x0
	s_cmp_ge_u32 s28, s33
	s_cbranch_scc1 .LBB26_18
; %bb.1:
	s_clause 0x1
	s_load_b64 s[30:31], s[0:1], 0x0
	s_load_b128 s[24:27], s[0:1], 0x8
	s_bfe_u32 s6, ttmp6, 0x4000c
	s_and_b32 s5, ttmp6, 15
	s_add_co_i32 s6, s6, 1
	s_load_b256 s[16:23], s[0:1], 0x30
	s_mul_i32 s6, ttmp9, s6
	v_bfe_u32 v14, v0, 10, 10
	s_add_co_i32 s5, s5, s6
	s_load_b256 s[8:15], s[0:1], 0x50
	v_and_b32_e32 v15, 0x3ff, v0
	s_delay_alu instid0(VALU_DEP_2) | instskip(SKIP_2) | instid1(SALU_CYCLE_1)
	v_dual_mov_b32 v9, 0 :: v_dual_lshlrev_b32 v20, 5, v14
	s_wait_kmcnt 0x0
	s_add_co_i32 s3, s30, -1
	s_ashr_i32 s4, s3, 31
	s_delay_alu instid0(SALU_CYCLE_1) | instskip(NEXT) | instid1(SALU_CYCLE_1)
	s_lshr_b32 s4, s4, 27
	s_add_co_i32 s3, s3, s4
	s_delay_alu instid0(SALU_CYCLE_1) | instskip(NEXT) | instid1(SALU_CYCLE_1)
	s_ashr_i32 s3, s3, 5
	s_add_co_i32 s34, s3, 1
	s_not_b32 s3, s3
	s_cvt_f32_u32 s4, s34
	s_delay_alu instid0(SALU_CYCLE_3) | instskip(SKIP_1) | instid1(TRANS32_DEP_1)
	v_rcp_iflag_f32_e32 v1, s4
	v_nop
	v_readfirstlane_b32 s4, v1
	v_lshlrev_b32_e32 v1, 1, v14
	s_mul_f32 s4, s4, 0x4f7ffffe
	s_delay_alu instid0(SALU_CYCLE_3) | instskip(NEXT) | instid1(SALU_CYCLE_3)
	s_cvt_u32_f32 s4, s4
	s_mul_i32 s3, s3, s4
	s_delay_alu instid0(SALU_CYCLE_1) | instskip(NEXT) | instid1(SALU_CYCLE_1)
	s_mul_hi_u32 s3, s4, s3
	s_add_co_i32 s4, s4, s3
	s_cmp_eq_u32 s2, 0
	s_cselect_b32 s2, ttmp9, s5
	s_delay_alu instid0(SALU_CYCLE_1) | instskip(SKIP_4) | instid1(SALU_CYCLE_1)
	s_mul_hi_u32 s3, s2, s4
	s_load_b128 s[4:7], s[0:1], 0x20
	s_mul_i32 s35, s3, s34
	s_add_co_i32 s36, s3, 1
	s_sub_co_i32 s35, s2, s35
	s_sub_co_i32 s37, s35, s34
	s_cmp_ge_u32 s35, s34
	s_cselect_b32 s3, s36, s3
	s_cselect_b32 s35, s37, s35
	s_add_co_i32 s36, s3, 1
	s_cmp_ge_u32 s35, s34
	s_cselect_b32 s3, s36, s3
	s_delay_alu instid0(SALU_CYCLE_1) | instskip(SKIP_2) | instid1(SALU_CYCLE_1)
	s_mul_i32 s34, s3, s34
	v_lshl_add_u32 v0, s3, 6, v1
	s_sub_co_i32 s2, s2, s34
	v_lshl_add_u32 v2, s2, 5, v15
	s_load_b64 s[2:3], s[0:1], 0x18
	s_delay_alu instid0(VALU_DEP_2) | instskip(SKIP_1) | instid1(VALU_DEP_3)
	v_or_b32_e32 v8, v0, v15
	v_dual_ashrrev_i32 v1, 31, v0 :: v_dual_bitop2_b32 v4, 1, v0 bitop3:0x54
	v_ashrrev_i32_e32 v3, 31, v2
	s_wait_kmcnt 0x0
	s_lshl_b64 s[4:5], s[4:5], 4
	v_mul_u64_e32 v[6:7], s[22:23], v[8:9]
	v_ashrrev_i32_e32 v5, 31, v4
	v_mul_u64_e32 v[10:11], s[14:15], v[0:1]
	v_mul_u64_e32 v[18:19], s[6:7], v[2:3]
	v_lshlrev_b32_e32 v1, 4, v15
	s_lshl_b64 s[6:7], s[12:13], 4
	v_mul_u64_e32 v[12:13], s[14:15], v[4:5]
	s_load_b64 s[14:15], s[0:1], 0x70
	s_lshl_b64 s[12:13], s[20:21], 4
	s_add_nc_u64 s[6:7], s[10:11], s[6:7]
	s_add_nc_u64 s[10:11], s[18:19], s[12:13]
	s_wait_xcnt 0x0
	v_cmp_eq_u32_e64 s0, 0, v14
	v_cmp_gt_u32_e64 s1, 2, v15
	v_add_nc_u32_e32 v21, 0x400, v1
	s_add_nc_u64 s[12:13], s[2:3], s[4:5]
	v_add_nc_u32_e32 v22, v20, v1
	v_cmp_gt_i32_e64 s2, s31, v0
	v_cmp_gt_i32_e64 s3, s30, v2
	v_cmp_gt_u32_e64 s4, s31, v8
	v_lshl_add_u64 v[14:15], v[2:3], 4, s[6:7]
	v_cmp_gt_i32_e64 s5, s31, v4
	v_lshl_add_u64 v[16:17], v[6:7], 4, s[10:11]
	v_lshl_add_u64 v[18:19], v[18:19], 4, s[12:13]
	s_branch .LBB26_4
.LBB26_2:                               ;   in Loop: Header=BB26_4 Depth=1
	s_wait_xcnt 0x0
	s_or_b32 exec_lo, exec_lo, s6
.LBB26_3:                               ;   in Loop: Header=BB26_4 Depth=1
	s_add_co_i32 s28, s28, 0x10000
	s_delay_alu instid0(SALU_CYCLE_1)
	s_cmp_lt_u32 s28, s33
	s_cbranch_scc0 .LBB26_18
.LBB26_4:                               ; =>This Inner Loop Header: Depth=1
	s_mul_u64 s[6:7], s[26:27], s[28:29]
	s_delay_alu instid0(SALU_CYCLE_1) | instskip(NEXT) | instid1(SALU_CYCLE_1)
	s_lshl_b64 s[6:7], s[6:7], 4
	s_add_nc_u64 s[6:7], s[24:25], s[6:7]
	global_load_b128 v[0:3], v9, s[6:7]
	s_wait_loadcnt 0x0
	v_cmp_neq_f64_e32 vcc_lo, 0, v[0:1]
	s_wait_xcnt 0x0
	v_cmp_neq_f64_e64 s6, 0, v[2:3]
	s_or_b32 s6, vcc_lo, s6
	s_delay_alu instid0(SALU_CYCLE_1)
	s_and_not1_b32 vcc_lo, exec_lo, s6
	s_cbranch_vccnz .LBB26_3
; %bb.5:                                ;   in Loop: Header=BB26_4 Depth=1
	s_and_saveexec_b32 s6, s0
	s_cbranch_execz .LBB26_9
; %bb.6:                                ;   in Loop: Header=BB26_4 Depth=1
	v_mov_b64_e32 v[4:5], 0
	v_mov_b64_e32 v[6:7], 0
	s_and_saveexec_b32 s7, s3
	s_cbranch_execz .LBB26_8
; %bb.7:                                ;   in Loop: Header=BB26_4 Depth=1
	s_mul_u64 s[10:11], s[16:17], s[28:29]
	s_delay_alu instid0(SALU_CYCLE_1)
	v_lshl_add_u64 v[4:5], s[10:11], 4, v[18:19]
	global_load_b128 v[4:7], v[4:5], off
.LBB26_8:                               ;   in Loop: Header=BB26_4 Depth=1
	s_wait_xcnt 0x0
	s_or_b32 exec_lo, exec_lo, s7
	s_wait_loadcnt 0x0
	ds_store_b128 v21, v[4:7]
.LBB26_9:                               ;   in Loop: Header=BB26_4 Depth=1
	s_or_b32 exec_lo, exec_lo, s6
	s_and_saveexec_b32 s6, s1
	s_cbranch_execz .LBB26_13
; %bb.10:                               ;   in Loop: Header=BB26_4 Depth=1
	v_mov_b64_e32 v[4:5], 0
	v_mov_b64_e32 v[6:7], 0
	s_and_saveexec_b32 s7, s4
	s_cbranch_execz .LBB26_12
; %bb.11:                               ;   in Loop: Header=BB26_4 Depth=1
	s_mul_u64 s[10:11], s[8:9], s[28:29]
	s_delay_alu instid0(SALU_CYCLE_1)
	v_lshl_add_u64 v[4:5], s[10:11], 4, v[16:17]
	global_load_b128 v[4:7], v[4:5], off
.LBB26_12:                              ;   in Loop: Header=BB26_4 Depth=1
	s_wait_xcnt 0x0
	s_or_b32 exec_lo, exec_lo, s7
	s_wait_loadcnt 0x0
	ds_store_b128 v22, v[4:7]
.LBB26_13:                              ;   in Loop: Header=BB26_4 Depth=1
	s_or_b32 exec_lo, exec_lo, s6
	s_wait_dscnt 0x0
	s_barrier_signal -1
	s_barrier_wait -1
	s_and_saveexec_b32 s6, s3
	s_cbranch_execz .LBB26_2
; %bb.14:                               ;   in Loop: Header=BB26_4 Depth=1
	ds_load_b128 v[24:27], v21
	s_wait_kmcnt 0x0
	s_mul_u64 s[10:11], s[14:15], s[28:29]
	s_wait_dscnt 0x0
	v_mul_f64_e32 v[6:7], v[2:3], v[26:27]
	v_mul_f64_e32 v[4:5], v[0:1], v[26:27]
	s_delay_alu instid0(VALU_DEP_2) | instskip(NEXT) | instid1(VALU_DEP_2)
	v_fma_f64 v[0:1], v[0:1], v[24:25], -v[6:7]
	v_fmac_f64_e32 v[4:5], v[2:3], v[24:25]
	v_lshl_add_u64 v[2:3], s[10:11], 4, v[14:15]
	s_and_saveexec_b32 s7, s2
	s_cbranch_execz .LBB26_16
; %bb.15:                               ;   in Loop: Header=BB26_4 Depth=1
	s_delay_alu instid0(VALU_DEP_1)
	v_lshl_add_u64 v[6:7], v[10:11], 4, v[2:3]
	ds_load_b128 v[28:31], v20
	global_load_b128 v[24:27], v[6:7], off
	s_wait_dscnt 0x0
	v_mul_f64_e32 v[32:33], v[4:5], v[30:31]
	v_mul_f64_e32 v[30:31], v[0:1], v[30:31]
	s_delay_alu instid0(VALU_DEP_2) | instskip(NEXT) | instid1(VALU_DEP_2)
	v_fma_f64 v[32:33], v[0:1], v[28:29], -v[32:33]
	v_fmac_f64_e32 v[30:31], v[4:5], v[28:29]
	s_wait_loadcnt 0x0
	s_delay_alu instid0(VALU_DEP_2) | instskip(NEXT) | instid1(VALU_DEP_2)
	v_add_f64_e32 v[24:25], v[24:25], v[32:33]
	v_add_f64_e32 v[26:27], v[30:31], v[26:27]
	global_store_b128 v[6:7], v[24:27], off
.LBB26_16:                              ;   in Loop: Header=BB26_4 Depth=1
	s_wait_xcnt 0x0
	s_or_b32 exec_lo, exec_lo, s7
	s_delay_alu instid0(SALU_CYCLE_1)
	s_and_b32 exec_lo, exec_lo, s5
	s_cbranch_execz .LBB26_2
; %bb.17:                               ;   in Loop: Header=BB26_4 Depth=1
	v_lshl_add_u64 v[6:7], v[12:13], 4, v[2:3]
	ds_load_b128 v[28:31], v20 offset:16
	global_load_b128 v[24:27], v[6:7], off
	s_wait_dscnt 0x0
	v_mul_f64_e32 v[2:3], v[4:5], v[30:31]
	v_mul_f64_e32 v[30:31], v[0:1], v[30:31]
	s_delay_alu instid0(VALU_DEP_2) | instskip(NEXT) | instid1(VALU_DEP_2)
	v_fma_f64 v[0:1], v[0:1], v[28:29], -v[2:3]
	v_fmac_f64_e32 v[30:31], v[4:5], v[28:29]
	s_wait_loadcnt 0x0
	s_delay_alu instid0(VALU_DEP_2) | instskip(NEXT) | instid1(VALU_DEP_2)
	v_add_f64_e32 v[0:1], v[24:25], v[0:1]
	v_add_f64_e32 v[2:3], v[30:31], v[26:27]
	global_store_b128 v[6:7], v[0:3], off
	s_branch .LBB26_2
.LBB26_18:
	s_endpgm
	.section	.rodata,"a",@progbits
	.p2align	6, 0x0
	.amdhsa_kernel _ZL18rocblas_ger_kernelILi32ELi32ELi2ELb0E19rocblas_complex_numIdEPKS1_S3_PS1_EviiT4_lT5_lllS6_lllT6_lmli
		.amdhsa_group_segment_fixed_size 1536
		.amdhsa_private_segment_fixed_size 0
		.amdhsa_kernarg_size 124
		.amdhsa_user_sgpr_count 2
		.amdhsa_user_sgpr_dispatch_ptr 0
		.amdhsa_user_sgpr_queue_ptr 0
		.amdhsa_user_sgpr_kernarg_segment_ptr 1
		.amdhsa_user_sgpr_dispatch_id 0
		.amdhsa_user_sgpr_kernarg_preload_length 0
		.amdhsa_user_sgpr_kernarg_preload_offset 0
		.amdhsa_user_sgpr_private_segment_size 0
		.amdhsa_wavefront_size32 1
		.amdhsa_uses_dynamic_stack 0
		.amdhsa_enable_private_segment 0
		.amdhsa_system_sgpr_workgroup_id_x 1
		.amdhsa_system_sgpr_workgroup_id_y 0
		.amdhsa_system_sgpr_workgroup_id_z 1
		.amdhsa_system_sgpr_workgroup_info 0
		.amdhsa_system_vgpr_workitem_id 1
		.amdhsa_next_free_vgpr 34
		.amdhsa_next_free_sgpr 38
		.amdhsa_named_barrier_count 0
		.amdhsa_reserve_vcc 1
		.amdhsa_float_round_mode_32 0
		.amdhsa_float_round_mode_16_64 0
		.amdhsa_float_denorm_mode_32 3
		.amdhsa_float_denorm_mode_16_64 3
		.amdhsa_fp16_overflow 0
		.amdhsa_memory_ordered 1
		.amdhsa_forward_progress 1
		.amdhsa_inst_pref_size 9
		.amdhsa_round_robin_scheduling 0
		.amdhsa_exception_fp_ieee_invalid_op 0
		.amdhsa_exception_fp_denorm_src 0
		.amdhsa_exception_fp_ieee_div_zero 0
		.amdhsa_exception_fp_ieee_overflow 0
		.amdhsa_exception_fp_ieee_underflow 0
		.amdhsa_exception_fp_ieee_inexact 0
		.amdhsa_exception_int_div_zero 0
	.end_amdhsa_kernel
	.section	.text._ZL18rocblas_ger_kernelILi32ELi32ELi2ELb0E19rocblas_complex_numIdEPKS1_S3_PS1_EviiT4_lT5_lllS6_lllT6_lmli,"axG",@progbits,_ZL18rocblas_ger_kernelILi32ELi32ELi2ELb0E19rocblas_complex_numIdEPKS1_S3_PS1_EviiT4_lT5_lllS6_lllT6_lmli,comdat
.Lfunc_end26:
	.size	_ZL18rocblas_ger_kernelILi32ELi32ELi2ELb0E19rocblas_complex_numIdEPKS1_S3_PS1_EviiT4_lT5_lllS6_lllT6_lmli, .Lfunc_end26-_ZL18rocblas_ger_kernelILi32ELi32ELi2ELb0E19rocblas_complex_numIdEPKS1_S3_PS1_EviiT4_lT5_lllS6_lllT6_lmli
                                        ; -- End function
	.set _ZL18rocblas_ger_kernelILi32ELi32ELi2ELb0E19rocblas_complex_numIdEPKS1_S3_PS1_EviiT4_lT5_lllS6_lllT6_lmli.num_vgpr, 34
	.set _ZL18rocblas_ger_kernelILi32ELi32ELi2ELb0E19rocblas_complex_numIdEPKS1_S3_PS1_EviiT4_lT5_lllS6_lllT6_lmli.num_agpr, 0
	.set _ZL18rocblas_ger_kernelILi32ELi32ELi2ELb0E19rocblas_complex_numIdEPKS1_S3_PS1_EviiT4_lT5_lllS6_lllT6_lmli.numbered_sgpr, 38
	.set _ZL18rocblas_ger_kernelILi32ELi32ELi2ELb0E19rocblas_complex_numIdEPKS1_S3_PS1_EviiT4_lT5_lllS6_lllT6_lmli.num_named_barrier, 0
	.set _ZL18rocblas_ger_kernelILi32ELi32ELi2ELb0E19rocblas_complex_numIdEPKS1_S3_PS1_EviiT4_lT5_lllS6_lllT6_lmli.private_seg_size, 0
	.set _ZL18rocblas_ger_kernelILi32ELi32ELi2ELb0E19rocblas_complex_numIdEPKS1_S3_PS1_EviiT4_lT5_lllS6_lllT6_lmli.uses_vcc, 1
	.set _ZL18rocblas_ger_kernelILi32ELi32ELi2ELb0E19rocblas_complex_numIdEPKS1_S3_PS1_EviiT4_lT5_lllS6_lllT6_lmli.uses_flat_scratch, 0
	.set _ZL18rocblas_ger_kernelILi32ELi32ELi2ELb0E19rocblas_complex_numIdEPKS1_S3_PS1_EviiT4_lT5_lllS6_lllT6_lmli.has_dyn_sized_stack, 0
	.set _ZL18rocblas_ger_kernelILi32ELi32ELi2ELb0E19rocblas_complex_numIdEPKS1_S3_PS1_EviiT4_lT5_lllS6_lllT6_lmli.has_recursion, 0
	.set _ZL18rocblas_ger_kernelILi32ELi32ELi2ELb0E19rocblas_complex_numIdEPKS1_S3_PS1_EviiT4_lT5_lllS6_lllT6_lmli.has_indirect_call, 0
	.section	.AMDGPU.csdata,"",@progbits
; Kernel info:
; codeLenInByte = 1052
; TotalNumSgprs: 40
; NumVgprs: 34
; ScratchSize: 0
; MemoryBound: 1
; FloatMode: 240
; IeeeMode: 1
; LDSByteSize: 1536 bytes/workgroup (compile time only)
; SGPRBlocks: 0
; VGPRBlocks: 2
; NumSGPRsForWavesPerEU: 40
; NumVGPRsForWavesPerEU: 34
; NamedBarCnt: 0
; Occupancy: 16
; WaveLimiterHint : 0
; COMPUTE_PGM_RSRC2:SCRATCH_EN: 0
; COMPUTE_PGM_RSRC2:USER_SGPR: 2
; COMPUTE_PGM_RSRC2:TRAP_HANDLER: 0
; COMPUTE_PGM_RSRC2:TGID_X_EN: 1
; COMPUTE_PGM_RSRC2:TGID_Y_EN: 0
; COMPUTE_PGM_RSRC2:TGID_Z_EN: 1
; COMPUTE_PGM_RSRC2:TIDIG_COMP_CNT: 1
	.section	.text._ZL18rocblas_ger_kernelILi32ELi32ELi2ELb0E19rocblas_complex_numIdES1_PKS1_PS1_EviiT4_lT5_lllS6_lllT6_lmli,"axG",@progbits,_ZL18rocblas_ger_kernelILi32ELi32ELi2ELb0E19rocblas_complex_numIdES1_PKS1_PS1_EviiT4_lT5_lllS6_lllT6_lmli,comdat
	.globl	_ZL18rocblas_ger_kernelILi32ELi32ELi2ELb0E19rocblas_complex_numIdES1_PKS1_PS1_EviiT4_lT5_lllS6_lllT6_lmli ; -- Begin function _ZL18rocblas_ger_kernelILi32ELi32ELi2ELb0E19rocblas_complex_numIdES1_PKS1_PS1_EviiT4_lT5_lllS6_lllT6_lmli
	.p2align	8
	.type	_ZL18rocblas_ger_kernelILi32ELi32ELi2ELb0E19rocblas_complex_numIdES1_PKS1_PS1_EviiT4_lT5_lllS6_lllT6_lmli,@function
_ZL18rocblas_ger_kernelILi32ELi32ELi2ELb0E19rocblas_complex_numIdES1_PKS1_PS1_EviiT4_lT5_lllS6_lllT6_lmli: ; @_ZL18rocblas_ger_kernelILi32ELi32ELi2ELb0E19rocblas_complex_numIdES1_PKS1_PS1_EviiT4_lT5_lllS6_lllT6_lmli
; %bb.0:
	s_load_b32 s33, s[0:1], 0x80
	s_bfe_u32 s2, ttmp6, 0x40014
	s_lshr_b32 s3, ttmp7, 16
	s_add_co_i32 s2, s2, 1
	s_bfe_u32 s5, ttmp6, 0x40008
	s_mul_i32 s4, s3, s2
	s_getreg_b32 s2, hwreg(HW_REG_IB_STS2, 6, 4)
	s_add_co_i32 s5, s5, s4
	s_cmp_eq_u32 s2, 0
	s_mov_b32 s29, 0
	s_cselect_b32 s28, s3, s5
	s_wait_kmcnt 0x0
	s_cmp_ge_u32 s28, s33
	s_cbranch_scc1 .LBB27_18
; %bb.1:
	s_clause 0x1
	s_load_b64 s[30:31], s[0:1], 0x0
	s_load_b128 s[24:27], s[0:1], 0x8
	s_bfe_u32 s6, ttmp6, 0x4000c
	s_and_b32 s5, ttmp6, 15
	s_add_co_i32 s6, s6, 1
	s_load_b256 s[16:23], s[0:1], 0x38
	s_mul_i32 s6, ttmp9, s6
	v_bfe_u32 v17, v0, 10, 10
	s_add_co_i32 s5, s5, s6
	s_load_b256 s[8:15], s[0:1], 0x58
	v_and_b32_e32 v18, 0x3ff, v0
	s_delay_alu instid0(VALU_DEP_2) | instskip(SKIP_2) | instid1(SALU_CYCLE_1)
	v_dual_mov_b32 v9, 0 :: v_dual_lshlrev_b32 v16, 5, v17
	s_wait_kmcnt 0x0
	s_add_co_i32 s3, s30, -1
	s_ashr_i32 s4, s3, 31
	s_delay_alu instid0(SALU_CYCLE_1) | instskip(NEXT) | instid1(SALU_CYCLE_1)
	s_lshr_b32 s4, s4, 27
	s_add_co_i32 s3, s3, s4
	s_delay_alu instid0(SALU_CYCLE_1) | instskip(NEXT) | instid1(SALU_CYCLE_1)
	s_ashr_i32 s3, s3, 5
	s_add_co_i32 s34, s3, 1
	s_not_b32 s3, s3
	s_cvt_f32_u32 s4, s34
	s_delay_alu instid0(SALU_CYCLE_3) | instskip(SKIP_1) | instid1(TRANS32_DEP_1)
	v_rcp_iflag_f32_e32 v1, s4
	v_nop
	v_readfirstlane_b32 s4, v1
	v_lshlrev_b32_e32 v1, 1, v17
	s_mul_f32 s4, s4, 0x4f7ffffe
	s_delay_alu instid0(SALU_CYCLE_3) | instskip(NEXT) | instid1(SALU_CYCLE_3)
	s_cvt_u32_f32 s4, s4
	s_mul_i32 s3, s3, s4
	s_delay_alu instid0(SALU_CYCLE_1) | instskip(NEXT) | instid1(SALU_CYCLE_1)
	s_mul_hi_u32 s3, s4, s3
	s_add_co_i32 s4, s4, s3
	s_cmp_eq_u32 s2, 0
	s_cselect_b32 s2, ttmp9, s5
	s_delay_alu instid0(SALU_CYCLE_1) | instskip(SKIP_4) | instid1(SALU_CYCLE_1)
	s_mul_hi_u32 s3, s2, s4
	s_load_b128 s[4:7], s[0:1], 0x28
	s_mul_i32 s35, s3, s34
	s_add_co_i32 s36, s3, 1
	s_sub_co_i32 s35, s2, s35
	s_sub_co_i32 s37, s35, s34
	s_cmp_ge_u32 s35, s34
	s_cselect_b32 s3, s36, s3
	s_cselect_b32 s35, s37, s35
	s_add_co_i32 s36, s3, 1
	s_cmp_ge_u32 s35, s34
	v_cmp_neq_f64_e64 s35, s[26:27], 0
	s_cselect_b32 s3, s36, s3
	s_lshl_b64 s[12:13], s[12:13], 4
	s_mul_i32 s34, s3, s34
	v_lshl_add_u32 v0, s3, 6, v1
	s_sub_co_i32 s2, s2, s34
	v_cmp_neq_f64_e64 s34, s[24:25], 0
	v_lshl_add_u32 v2, s2, 5, v18
	s_load_b64 s[2:3], s[0:1], 0x20
	v_dual_ashrrev_i32 v1, 31, v0 :: v_dual_bitop2_b32 v8, v0, v18 bitop3:0x54
	s_delay_alu instid0(VALU_DEP_2) | instskip(SKIP_2) | instid1(VALU_DEP_2)
	v_dual_ashrrev_i32 v3, 31, v2 :: v_dual_bitop2_b32 v10, 1, v0 bitop3:0x54
	s_wait_kmcnt 0x0
	s_lshl_b64 s[4:5], s[4:5], 4
	v_mul_u64_e32 v[12:13], s[22:23], v[8:9]
	v_mul_u64_e32 v[4:5], s[14:15], v[0:1]
	v_ashrrev_i32_e32 v11, 31, v10
	v_mul_u64_e32 v[14:15], s[6:7], v[2:3]
	s_load_b64 s[6:7], s[0:1], 0x78
	v_lshlrev_b32_e32 v1, 4, v18
	s_add_nc_u64 s[10:11], s[10:11], s[12:13]
	s_wait_xcnt 0x0
	v_cmp_eq_u32_e64 s0, 0, v17
	v_mul_u64_e32 v[6:7], s[14:15], v[10:11]
	s_lshl_b64 s[14:15], s[20:21], 4
	v_cmp_gt_u32_e64 s1, 2, v18
	s_add_nc_u64 s[12:13], s[18:19], s[14:15]
	v_add_nc_u32_e32 v17, 0x400, v1
	v_add_nc_u32_e32 v18, v16, v1
	s_add_nc_u64 s[14:15], s[2:3], s[4:5]
	v_cmp_gt_i32_e64 s2, s31, v0
	v_cmp_gt_i32_e64 s3, s30, v2
	v_cmp_gt_u32_e64 s4, s31, v8
	v_cmp_gt_i32_e64 s5, s31, v10
	v_lshl_add_u64 v[8:9], v[2:3], 4, s[10:11]
	s_or_b32 s10, s34, s35
	v_lshl_add_u64 v[10:11], v[12:13], 4, s[12:13]
	v_lshl_add_u64 v[12:13], v[14:15], 4, s[14:15]
	s_branch .LBB27_4
.LBB27_2:                               ;   in Loop: Header=BB27_4 Depth=1
	s_wait_xcnt 0x0
	s_or_b32 exec_lo, exec_lo, s11
.LBB27_3:                               ;   in Loop: Header=BB27_4 Depth=1
	s_add_co_i32 s28, s28, 0x10000
	s_delay_alu instid0(SALU_CYCLE_1)
	s_cmp_lt_u32 s28, s33
	s_cbranch_scc0 .LBB27_18
.LBB27_4:                               ; =>This Inner Loop Header: Depth=1
	s_and_not1_b32 vcc_lo, exec_lo, s10
	s_cbranch_vccnz .LBB27_3
; %bb.5:                                ;   in Loop: Header=BB27_4 Depth=1
	s_and_saveexec_b32 s11, s0
	s_cbranch_execz .LBB27_9
; %bb.6:                                ;   in Loop: Header=BB27_4 Depth=1
	v_mov_b64_e32 v[0:1], 0
	v_mov_b64_e32 v[2:3], 0
	s_and_saveexec_b32 s12, s3
	s_cbranch_execz .LBB27_8
; %bb.7:                                ;   in Loop: Header=BB27_4 Depth=1
	s_mul_u64 s[14:15], s[16:17], s[28:29]
	s_delay_alu instid0(SALU_CYCLE_1)
	v_lshl_add_u64 v[0:1], s[14:15], 4, v[12:13]
	global_load_b128 v[0:3], v[0:1], off
.LBB27_8:                               ;   in Loop: Header=BB27_4 Depth=1
	s_wait_xcnt 0x0
	s_or_b32 exec_lo, exec_lo, s12
	s_wait_loadcnt 0x0
	ds_store_b128 v17, v[0:3]
.LBB27_9:                               ;   in Loop: Header=BB27_4 Depth=1
	s_or_b32 exec_lo, exec_lo, s11
	s_and_saveexec_b32 s11, s1
	s_cbranch_execz .LBB27_13
; %bb.10:                               ;   in Loop: Header=BB27_4 Depth=1
	v_mov_b64_e32 v[0:1], 0
	v_mov_b64_e32 v[2:3], 0
	s_and_saveexec_b32 s12, s4
	s_cbranch_execz .LBB27_12
; %bb.11:                               ;   in Loop: Header=BB27_4 Depth=1
	s_mul_u64 s[14:15], s[8:9], s[28:29]
	s_delay_alu instid0(SALU_CYCLE_1)
	v_lshl_add_u64 v[0:1], s[14:15], 4, v[10:11]
	global_load_b128 v[0:3], v[0:1], off
.LBB27_12:                              ;   in Loop: Header=BB27_4 Depth=1
	s_wait_xcnt 0x0
	s_or_b32 exec_lo, exec_lo, s12
	s_wait_loadcnt 0x0
	ds_store_b128 v18, v[0:3]
.LBB27_13:                              ;   in Loop: Header=BB27_4 Depth=1
	s_or_b32 exec_lo, exec_lo, s11
	s_wait_dscnt 0x0
	s_barrier_signal -1
	s_barrier_wait -1
	s_and_saveexec_b32 s11, s3
	s_cbranch_execz .LBB27_2
; %bb.14:                               ;   in Loop: Header=BB27_4 Depth=1
	ds_load_b128 v[20:23], v17
	s_wait_kmcnt 0x0
	s_mul_u64 s[12:13], s[6:7], s[28:29]
	s_delay_alu instid0(SALU_CYCLE_1) | instskip(SKIP_3) | instid1(VALU_DEP_2)
	v_lshl_add_u64 v[14:15], s[12:13], 4, v[8:9]
	s_wait_dscnt 0x0
	v_mul_f64_e32 v[2:3], s[26:27], v[22:23]
	v_mul_f64_e32 v[0:1], s[24:25], v[22:23]
	v_fma_f64 v[2:3], s[24:25], v[20:21], -v[2:3]
	s_delay_alu instid0(VALU_DEP_2)
	v_fmac_f64_e32 v[0:1], s[26:27], v[20:21]
	s_and_saveexec_b32 s12, s2
	s_cbranch_execz .LBB27_16
; %bb.15:                               ;   in Loop: Header=BB27_4 Depth=1
	v_lshl_add_u64 v[28:29], v[4:5], 4, v[14:15]
	ds_load_b128 v[24:27], v16
	global_load_b128 v[20:23], v[28:29], off
	s_wait_dscnt 0x0
	v_mul_f64_e32 v[30:31], v[0:1], v[26:27]
	v_mul_f64_e32 v[26:27], v[2:3], v[26:27]
	s_delay_alu instid0(VALU_DEP_2) | instskip(NEXT) | instid1(VALU_DEP_2)
	v_fma_f64 v[30:31], v[2:3], v[24:25], -v[30:31]
	v_fmac_f64_e32 v[26:27], v[0:1], v[24:25]
	s_wait_loadcnt 0x0
	s_delay_alu instid0(VALU_DEP_2) | instskip(NEXT) | instid1(VALU_DEP_2)
	v_add_f64_e32 v[20:21], v[20:21], v[30:31]
	v_add_f64_e32 v[22:23], v[26:27], v[22:23]
	global_store_b128 v[28:29], v[20:23], off
.LBB27_16:                              ;   in Loop: Header=BB27_4 Depth=1
	s_wait_xcnt 0x0
	s_or_b32 exec_lo, exec_lo, s12
	s_delay_alu instid0(SALU_CYCLE_1)
	s_and_b32 exec_lo, exec_lo, s5
	s_cbranch_execz .LBB27_2
; %bb.17:                               ;   in Loop: Header=BB27_4 Depth=1
	v_lshl_add_u64 v[14:15], v[6:7], 4, v[14:15]
	ds_load_b128 v[24:27], v16 offset:16
	global_load_b128 v[20:23], v[14:15], off
	s_wait_dscnt 0x0
	v_mul_f64_e32 v[28:29], v[0:1], v[26:27]
	v_mul_f64_e32 v[26:27], v[2:3], v[26:27]
	s_delay_alu instid0(VALU_DEP_2) | instskip(NEXT) | instid1(VALU_DEP_2)
	v_fma_f64 v[2:3], v[2:3], v[24:25], -v[28:29]
	v_fmac_f64_e32 v[26:27], v[0:1], v[24:25]
	s_wait_loadcnt 0x0
	s_delay_alu instid0(VALU_DEP_2) | instskip(NEXT) | instid1(VALU_DEP_2)
	v_add_f64_e32 v[0:1], v[20:21], v[2:3]
	v_add_f64_e32 v[2:3], v[26:27], v[22:23]
	global_store_b128 v[14:15], v[0:3], off
	s_branch .LBB27_2
.LBB27_18:
	s_endpgm
	.section	.rodata,"a",@progbits
	.p2align	6, 0x0
	.amdhsa_kernel _ZL18rocblas_ger_kernelILi32ELi32ELi2ELb0E19rocblas_complex_numIdES1_PKS1_PS1_EviiT4_lT5_lllS6_lllT6_lmli
		.amdhsa_group_segment_fixed_size 1536
		.amdhsa_private_segment_fixed_size 0
		.amdhsa_kernarg_size 132
		.amdhsa_user_sgpr_count 2
		.amdhsa_user_sgpr_dispatch_ptr 0
		.amdhsa_user_sgpr_queue_ptr 0
		.amdhsa_user_sgpr_kernarg_segment_ptr 1
		.amdhsa_user_sgpr_dispatch_id 0
		.amdhsa_user_sgpr_kernarg_preload_length 0
		.amdhsa_user_sgpr_kernarg_preload_offset 0
		.amdhsa_user_sgpr_private_segment_size 0
		.amdhsa_wavefront_size32 1
		.amdhsa_uses_dynamic_stack 0
		.amdhsa_enable_private_segment 0
		.amdhsa_system_sgpr_workgroup_id_x 1
		.amdhsa_system_sgpr_workgroup_id_y 0
		.amdhsa_system_sgpr_workgroup_id_z 1
		.amdhsa_system_sgpr_workgroup_info 0
		.amdhsa_system_vgpr_workitem_id 1
		.amdhsa_next_free_vgpr 32
		.amdhsa_next_free_sgpr 38
		.amdhsa_named_barrier_count 0
		.amdhsa_reserve_vcc 1
		.amdhsa_float_round_mode_32 0
		.amdhsa_float_round_mode_16_64 0
		.amdhsa_float_denorm_mode_32 3
		.amdhsa_float_denorm_mode_16_64 3
		.amdhsa_fp16_overflow 0
		.amdhsa_memory_ordered 1
		.amdhsa_forward_progress 1
		.amdhsa_inst_pref_size 8
		.amdhsa_round_robin_scheduling 0
		.amdhsa_exception_fp_ieee_invalid_op 0
		.amdhsa_exception_fp_denorm_src 0
		.amdhsa_exception_fp_ieee_div_zero 0
		.amdhsa_exception_fp_ieee_overflow 0
		.amdhsa_exception_fp_ieee_underflow 0
		.amdhsa_exception_fp_ieee_inexact 0
		.amdhsa_exception_int_div_zero 0
	.end_amdhsa_kernel
	.section	.text._ZL18rocblas_ger_kernelILi32ELi32ELi2ELb0E19rocblas_complex_numIdES1_PKS1_PS1_EviiT4_lT5_lllS6_lllT6_lmli,"axG",@progbits,_ZL18rocblas_ger_kernelILi32ELi32ELi2ELb0E19rocblas_complex_numIdES1_PKS1_PS1_EviiT4_lT5_lllS6_lllT6_lmli,comdat
.Lfunc_end27:
	.size	_ZL18rocblas_ger_kernelILi32ELi32ELi2ELb0E19rocblas_complex_numIdES1_PKS1_PS1_EviiT4_lT5_lllS6_lllT6_lmli, .Lfunc_end27-_ZL18rocblas_ger_kernelILi32ELi32ELi2ELb0E19rocblas_complex_numIdES1_PKS1_PS1_EviiT4_lT5_lllS6_lllT6_lmli
                                        ; -- End function
	.set _ZL18rocblas_ger_kernelILi32ELi32ELi2ELb0E19rocblas_complex_numIdES1_PKS1_PS1_EviiT4_lT5_lllS6_lllT6_lmli.num_vgpr, 32
	.set _ZL18rocblas_ger_kernelILi32ELi32ELi2ELb0E19rocblas_complex_numIdES1_PKS1_PS1_EviiT4_lT5_lllS6_lllT6_lmli.num_agpr, 0
	.set _ZL18rocblas_ger_kernelILi32ELi32ELi2ELb0E19rocblas_complex_numIdES1_PKS1_PS1_EviiT4_lT5_lllS6_lllT6_lmli.numbered_sgpr, 38
	.set _ZL18rocblas_ger_kernelILi32ELi32ELi2ELb0E19rocblas_complex_numIdES1_PKS1_PS1_EviiT4_lT5_lllS6_lllT6_lmli.num_named_barrier, 0
	.set _ZL18rocblas_ger_kernelILi32ELi32ELi2ELb0E19rocblas_complex_numIdES1_PKS1_PS1_EviiT4_lT5_lllS6_lllT6_lmli.private_seg_size, 0
	.set _ZL18rocblas_ger_kernelILi32ELi32ELi2ELb0E19rocblas_complex_numIdES1_PKS1_PS1_EviiT4_lT5_lllS6_lllT6_lmli.uses_vcc, 1
	.set _ZL18rocblas_ger_kernelILi32ELi32ELi2ELb0E19rocblas_complex_numIdES1_PKS1_PS1_EviiT4_lT5_lllS6_lllT6_lmli.uses_flat_scratch, 0
	.set _ZL18rocblas_ger_kernelILi32ELi32ELi2ELb0E19rocblas_complex_numIdES1_PKS1_PS1_EviiT4_lT5_lllS6_lllT6_lmli.has_dyn_sized_stack, 0
	.set _ZL18rocblas_ger_kernelILi32ELi32ELi2ELb0E19rocblas_complex_numIdES1_PKS1_PS1_EviiT4_lT5_lllS6_lllT6_lmli.has_recursion, 0
	.set _ZL18rocblas_ger_kernelILi32ELi32ELi2ELb0E19rocblas_complex_numIdES1_PKS1_PS1_EviiT4_lT5_lllS6_lllT6_lmli.has_indirect_call, 0
	.section	.AMDGPU.csdata,"",@progbits
; Kernel info:
; codeLenInByte = 1016
; TotalNumSgprs: 40
; NumVgprs: 32
; ScratchSize: 0
; MemoryBound: 1
; FloatMode: 240
; IeeeMode: 1
; LDSByteSize: 1536 bytes/workgroup (compile time only)
; SGPRBlocks: 0
; VGPRBlocks: 1
; NumSGPRsForWavesPerEU: 40
; NumVGPRsForWavesPerEU: 32
; NamedBarCnt: 0
; Occupancy: 16
; WaveLimiterHint : 1
; COMPUTE_PGM_RSRC2:SCRATCH_EN: 0
; COMPUTE_PGM_RSRC2:USER_SGPR: 2
; COMPUTE_PGM_RSRC2:TRAP_HANDLER: 0
; COMPUTE_PGM_RSRC2:TGID_X_EN: 1
; COMPUTE_PGM_RSRC2:TGID_Y_EN: 0
; COMPUTE_PGM_RSRC2:TGID_Z_EN: 1
; COMPUTE_PGM_RSRC2:TIDIG_COMP_CNT: 1
	.section	.text._ZL34rocblas_ger_double_buffered_kernelILb1ELi64ELi16ELi2E19rocblas_complex_numIfE24rocblas_internal_val_ptrIS1_EPKS1_PS1_EvbiiT4_lT5_lllS8_lllT6_lmli,"axG",@progbits,_ZL34rocblas_ger_double_buffered_kernelILb1ELi64ELi16ELi2E19rocblas_complex_numIfE24rocblas_internal_val_ptrIS1_EPKS1_PS1_EvbiiT4_lT5_lllS8_lllT6_lmli,comdat
	.globl	_ZL34rocblas_ger_double_buffered_kernelILb1ELi64ELi16ELi2E19rocblas_complex_numIfE24rocblas_internal_val_ptrIS1_EPKS1_PS1_EvbiiT4_lT5_lllS8_lllT6_lmli ; -- Begin function _ZL34rocblas_ger_double_buffered_kernelILb1ELi64ELi16ELi2E19rocblas_complex_numIfE24rocblas_internal_val_ptrIS1_EPKS1_PS1_EvbiiT4_lT5_lllS8_lllT6_lmli
	.p2align	8
	.type	_ZL34rocblas_ger_double_buffered_kernelILb1ELi64ELi16ELi2E19rocblas_complex_numIfE24rocblas_internal_val_ptrIS1_EPKS1_PS1_EvbiiT4_lT5_lllS8_lllT6_lmli,@function
_ZL34rocblas_ger_double_buffered_kernelILb1ELi64ELi16ELi2E19rocblas_complex_numIfE24rocblas_internal_val_ptrIS1_EPKS1_PS1_EvbiiT4_lT5_lllS8_lllT6_lmli: ; @_ZL34rocblas_ger_double_buffered_kernelILb1ELi64ELi16ELi2E19rocblas_complex_numIfE24rocblas_internal_val_ptrIS1_EPKS1_PS1_EvbiiT4_lT5_lllS8_lllT6_lmli
; %bb.0:
	s_load_b32 s30, s[0:1], 0x80
	s_bfe_u32 s2, ttmp6, 0x40014
	s_lshr_b32 s3, ttmp7, 16
	s_add_co_i32 s2, s2, 1
	s_bfe_u32 s4, ttmp6, 0x40008
	s_mul_i32 s2, s3, s2
	s_getreg_b32 s31, hwreg(HW_REG_IB_STS2, 6, 4)
	s_add_co_i32 s4, s4, s2
	s_cmp_eq_u32 s31, 0
	s_cselect_b32 s2, s3, s4
	s_mov_b32 s3, 0
	s_wait_kmcnt 0x0
	s_cmp_ge_u32 s2, s30
	s_cbranch_scc1 .LBB28_7
; %bb.1:
	v_dual_lshrrev_b32 v1, 4, v0 :: v_dual_mov_b32 v9, 0
	s_clause 0x1
	s_load_b128 s[24:27], s[0:1], 0x28
	s_load_b256 s[4:11], s[0:1], 0x58
	v_and_b32_e32 v2, 0x3ff, v0
	s_clause 0x1
	s_load_b256 s[12:19], s[0:1], 0x38
	s_load_b64 s[34:35], s[0:1], 0x20
	v_and_b32_e32 v1, 0xffc0, v1
	s_clause 0x2
	s_load_b32 s33, s[0:1], 0x0
	s_load_b128 s[20:23], s[0:1], 0x10
	s_load_b64 s[28:29], s[0:1], 0x78
	s_wait_xcnt 0x0
	s_mov_b32 s1, s3
	v_dual_add_nc_u32 v1, v1, v2 :: v_dual_bitop2_b32 v10, 31, v0 bitop3:0x40
	v_dual_mov_b32 v11, v9 :: v_dual_mov_b32 v3, v9
	s_delay_alu instid0(VALU_DEP_2) | instskip(NEXT) | instid1(VALU_DEP_1)
	v_dual_lshrrev_b32 v6, 4, v1 :: v_dual_bitop2_b32 v2, 32, v10 bitop3:0x54
	v_and_b32_e32 v8, 0x1ffe, v6
	s_wait_kmcnt 0x0
	s_delay_alu instid0(VALU_DEP_3) | instskip(NEXT) | instid1(VALU_DEP_3)
	v_mul_u64_e32 v[0:1], s[26:27], v[10:11]
	v_mul_u64_e32 v[2:3], s[26:27], v[2:3]
	s_delay_alu instid0(VALU_DEP_3)
	v_mul_u64_e32 v[12:13], s[10:11], v[8:9]
	v_mul_u64_e32 v[4:5], s[18:19], v[8:9]
	v_or_b32_e32 v8, 1, v6
	s_bitcmp1_b32 s33, 0
	s_cselect_b32 s0, -1, 0
	s_bfe_u32 s36, ttmp6, 0x4000c
	s_bfe_u32 s38, ttmp6, 0x40010
	v_mul_u64_e32 v[6:7], s[18:19], v[8:9]
	s_and_b32 s37, ttmp7, 0xffff
	s_add_co_i32 s36, s36, 1
	s_add_co_i32 s38, s38, 1
	s_and_b32 s33, ttmp6, 15
	s_bfe_u32 s39, ttmp6, 0x40004
	s_xor_b32 s40, s0, -1
	s_mul_i32 s0, ttmp9, s36
	s_mul_i32 s36, s37, s38
	s_lshl_b64 s[8:9], s[8:9], 3
	s_lshl_b64 s[16:17], s[16:17], 3
	;; [unrolled: 1-line block ×3, first 2 shown]
	s_add_co_i32 s33, s33, s0
	s_add_co_i32 s39, s39, s36
	s_cmp_eq_u32 s31, 0
	s_add_nc_u64 s[6:7], s[6:7], s[8:9]
	s_cselect_b32 s0, ttmp9, s33
	s_cselect_b32 s9, s37, s39
	s_lshl_b32 s8, s0, 6
	s_lshl_b32 s0, s9, 6
	s_ashr_i32 s9, s8, 31
	s_mul_u64 s[36:37], s[10:11], s[0:1]
	s_lshl_b64 s[38:39], s[8:9], 3
	s_lshl_b64 s[36:37], s[36:37], 3
	s_add_nc_u64 s[6:7], s[6:7], s[38:39]
	v_lshlrev_b32_e32 v8, 3, v10
	s_add_nc_u64 s[6:7], s[6:7], s[36:37]
	s_add_nc_u64 s[14:15], s[14:15], s[16:17]
	v_lshl_add_u64 v[10:11], v[12:13], 3, s[6:7]
	v_cndmask_b32_e64 v12, 0, 1, s40
	s_mul_u64 s[6:7], s[26:27], s[8:9]
	s_mul_u64 s[16:17], s[18:19], s[0:1]
	s_add_nc_u64 s[8:9], s[34:35], s[24:25]
	v_add_nc_u64_e32 v[8:9], v[10:11], v[8:9]
	v_cmp_ne_u32_e64 s0, 1, v12
	s_lshl_b64 s[6:7], s[6:7], 3
	s_lshl_b64 s[16:17], s[16:17], 3
	s_add_nc_u64 s[6:7], s[8:9], s[6:7]
	s_add_nc_u64 s[8:9], s[14:15], s[16:17]
	s_branch .LBB28_3
.LBB28_2:                               ;   in Loop: Header=BB28_3 Depth=1
	s_add_co_i32 s2, s2, 0x10000
	s_delay_alu instid0(SALU_CYCLE_1)
	s_cmp_lt_u32 s2, s30
	s_cbranch_scc0 .LBB28_7
.LBB28_3:                               ; =>This Inner Loop Header: Depth=1
	s_and_b32 vcc_lo, exec_lo, s0
	s_mov_b64 s[14:15], s[20:21]
	s_cbranch_vccnz .LBB28_5
; %bb.4:                                ;   in Loop: Header=BB28_3 Depth=1
	s_mul_u64 s[14:15], s[22:23], s[2:3]
	s_delay_alu instid0(SALU_CYCLE_1) | instskip(NEXT) | instid1(SALU_CYCLE_1)
	s_lshl_b64 s[14:15], s[14:15], 3
	s_add_nc_u64 s[16:17], s[20:21], s[14:15]
	s_load_b64 s[14:15], s[16:17], 0x0
.LBB28_5:                               ;   in Loop: Header=BB28_3 Depth=1
	s_wait_kmcnt 0x0
	s_cmp_neq_f32 s15, 0
	s_cselect_b32 s1, -1, 0
	s_cmp_neq_f32 s14, 0
	s_wait_xcnt 0x0
	s_cselect_b32 s16, -1, 0
	s_delay_alu instid0(SALU_CYCLE_1) | instskip(NEXT) | instid1(SALU_CYCLE_1)
	s_or_b32 s1, s16, s1
	s_and_not1_b32 vcc_lo, exec_lo, s1
	s_cbranch_vccnz .LBB28_2
; %bb.6:                                ;   in Loop: Header=BB28_3 Depth=1
	s_mul_u64 s[16:17], s[12:13], s[2:3]
	s_mul_u64 s[18:19], s[4:5], s[2:3]
	s_lshl_b64 s[16:17], s[16:17], 3
	s_delay_alu instid0(SALU_CYCLE_1) | instskip(NEXT) | instid1(SALU_CYCLE_1)
	s_add_nc_u64 s[16:17], s[6:7], s[16:17]
	v_lshl_add_u64 v[10:11], v[0:1], 3, s[16:17]
	v_lshl_add_u64 v[12:13], v[2:3], 3, s[16:17]
	s_lshl_b64 s[16:17], s[18:19], 3
	s_delay_alu instid0(SALU_CYCLE_1)
	s_add_nc_u64 s[16:17], s[8:9], s[16:17]
	s_clause 0x1
	global_load_b64 v[10:11], v[10:11], off
	global_load_b64 v[12:13], v[12:13], off
	v_lshl_add_u64 v[14:15], v[6:7], 3, s[16:17]
	v_lshl_add_u64 v[16:17], v[4:5], 3, s[16:17]
	s_clause 0x1
	global_load_b64 v[18:19], v[14:15], off
	global_load_b64 v[20:21], v[16:17], off
	s_mul_u64 s[16:17], s[28:29], s[2:3]
	s_wait_xcnt 0x1
	v_lshl_add_u64 v[14:15], s[16:17], 3, v[8:9]
	s_wait_xcnt 0x0
	s_delay_alu instid0(VALU_DEP_1)
	v_lshl_add_u64 v[16:17], s[10:11], 3, v[14:15]
	s_clause 0x3
	global_load_b64 v[22:23], v[14:15], off
	global_load_b64 v[24:25], v[16:17], off
	global_load_b64 v[26:27], v[16:17], off offset:256
	global_load_b64 v[28:29], v[14:15], off offset:256
	s_wait_loadcnt 0x6
	v_dual_mul_f32 v30, s14, v11 :: v_dual_mul_f32 v32, s14, v13
	v_dual_mul_f32 v11, s15, v11 :: v_dual_mul_f32 v13, s15, v13
	s_delay_alu instid0(VALU_DEP_2) | instskip(NEXT) | instid1(VALU_DEP_2)
	v_dual_fmac_f32 v30, s15, v10 :: v_dual_fmac_f32 v32, s15, v12
	v_dual_fma_f32 v10, s14, v10, -v11 :: v_dual_fma_f32 v12, s14, v12, -v13
	s_wait_loadcnt 0x5
	s_delay_alu instid0(VALU_DEP_2)
	v_pk_mul_f32 v[34:35], v[30:31], v[18:19] op_sel_hi:[0,1]
	s_wait_loadcnt 0x4
	v_pk_mul_f32 v[30:31], v[30:31], v[20:21] op_sel_hi:[0,1]
	v_pk_mul_f32 v[36:37], v[32:33], v[18:19] op_sel_hi:[0,1]
	;; [unrolled: 1-line block ×3, first 2 shown]
	v_pk_fma_f32 v[38:39], v[10:11], v[18:19], v[34:35] op_sel:[0,0,1] op_sel_hi:[1,1,0]
	v_pk_fma_f32 v[34:35], v[10:11], v[18:19], v[34:35] op_sel:[0,0,1] op_sel_hi:[0,1,0] neg_lo:[1,0,0] neg_hi:[1,0,0]
	v_pk_fma_f32 v[40:41], v[10:11], v[20:21], v[30:31] op_sel:[0,0,1] op_sel_hi:[1,1,0]
	v_pk_fma_f32 v[10:11], v[10:11], v[20:21], v[30:31] op_sel:[0,0,1] op_sel_hi:[0,1,0] neg_lo:[1,0,0] neg_hi:[1,0,0]
	v_pk_fma_f32 v[42:43], v[12:13], v[20:21], v[32:33] op_sel:[0,0,1] op_sel_hi:[0,1,0] neg_lo:[1,0,0] neg_hi:[1,0,0]
	v_pk_fma_f32 v[30:31], v[12:13], v[18:19], v[36:37] op_sel:[0,0,1] op_sel_hi:[1,1,0]
	v_pk_fma_f32 v[18:19], v[12:13], v[18:19], v[36:37] op_sel:[0,0,1] op_sel_hi:[0,1,0] neg_lo:[1,0,0] neg_hi:[1,0,0]
	v_pk_fma_f32 v[12:13], v[12:13], v[20:21], v[32:33] op_sel:[0,0,1] op_sel_hi:[1,1,0]
	v_dual_mov_b32 v41, v11 :: v_dual_mov_b32 v39, v35
	s_delay_alu instid0(VALU_DEP_3) | instskip(SKIP_1) | instid1(VALU_DEP_2)
	v_dual_mov_b32 v13, v43 :: v_dual_mov_b32 v31, v19
	s_wait_loadcnt 0x3
	v_pk_add_f32 v[10:11], v[22:23], v[40:41]
	s_wait_loadcnt 0x2
	v_pk_add_f32 v[18:19], v[24:25], v[38:39]
	;; [unrolled: 2-line block ×3, first 2 shown]
	v_pk_add_f32 v[20:21], v[26:27], v[30:31]
	s_clause 0x3
	global_store_b64 v[14:15], v[10:11], off
	global_store_b64 v[16:17], v[18:19], off
	global_store_b64 v[14:15], v[12:13], off offset:256
	global_store_b64 v[16:17], v[20:21], off offset:256
	s_branch .LBB28_2
.LBB28_7:
	s_endpgm
	.section	.rodata,"a",@progbits
	.p2align	6, 0x0
	.amdhsa_kernel _ZL34rocblas_ger_double_buffered_kernelILb1ELi64ELi16ELi2E19rocblas_complex_numIfE24rocblas_internal_val_ptrIS1_EPKS1_PS1_EvbiiT4_lT5_lllS8_lllT6_lmli
		.amdhsa_group_segment_fixed_size 0
		.amdhsa_private_segment_fixed_size 0
		.amdhsa_kernarg_size 132
		.amdhsa_user_sgpr_count 2
		.amdhsa_user_sgpr_dispatch_ptr 0
		.amdhsa_user_sgpr_queue_ptr 0
		.amdhsa_user_sgpr_kernarg_segment_ptr 1
		.amdhsa_user_sgpr_dispatch_id 0
		.amdhsa_user_sgpr_kernarg_preload_length 0
		.amdhsa_user_sgpr_kernarg_preload_offset 0
		.amdhsa_user_sgpr_private_segment_size 0
		.amdhsa_wavefront_size32 1
		.amdhsa_uses_dynamic_stack 0
		.amdhsa_enable_private_segment 0
		.amdhsa_system_sgpr_workgroup_id_x 1
		.amdhsa_system_sgpr_workgroup_id_y 1
		.amdhsa_system_sgpr_workgroup_id_z 1
		.amdhsa_system_sgpr_workgroup_info 0
		.amdhsa_system_vgpr_workitem_id 1
		.amdhsa_next_free_vgpr 44
		.amdhsa_next_free_sgpr 41
		.amdhsa_named_barrier_count 0
		.amdhsa_reserve_vcc 1
		.amdhsa_float_round_mode_32 0
		.amdhsa_float_round_mode_16_64 0
		.amdhsa_float_denorm_mode_32 3
		.amdhsa_float_denorm_mode_16_64 3
		.amdhsa_fp16_overflow 0
		.amdhsa_memory_ordered 1
		.amdhsa_forward_progress 1
		.amdhsa_inst_pref_size 9
		.amdhsa_round_robin_scheduling 0
		.amdhsa_exception_fp_ieee_invalid_op 0
		.amdhsa_exception_fp_denorm_src 0
		.amdhsa_exception_fp_ieee_div_zero 0
		.amdhsa_exception_fp_ieee_overflow 0
		.amdhsa_exception_fp_ieee_underflow 0
		.amdhsa_exception_fp_ieee_inexact 0
		.amdhsa_exception_int_div_zero 0
	.end_amdhsa_kernel
	.section	.text._ZL34rocblas_ger_double_buffered_kernelILb1ELi64ELi16ELi2E19rocblas_complex_numIfE24rocblas_internal_val_ptrIS1_EPKS1_PS1_EvbiiT4_lT5_lllS8_lllT6_lmli,"axG",@progbits,_ZL34rocblas_ger_double_buffered_kernelILb1ELi64ELi16ELi2E19rocblas_complex_numIfE24rocblas_internal_val_ptrIS1_EPKS1_PS1_EvbiiT4_lT5_lllS8_lllT6_lmli,comdat
.Lfunc_end28:
	.size	_ZL34rocblas_ger_double_buffered_kernelILb1ELi64ELi16ELi2E19rocblas_complex_numIfE24rocblas_internal_val_ptrIS1_EPKS1_PS1_EvbiiT4_lT5_lllS8_lllT6_lmli, .Lfunc_end28-_ZL34rocblas_ger_double_buffered_kernelILb1ELi64ELi16ELi2E19rocblas_complex_numIfE24rocblas_internal_val_ptrIS1_EPKS1_PS1_EvbiiT4_lT5_lllS8_lllT6_lmli
                                        ; -- End function
	.set _ZL34rocblas_ger_double_buffered_kernelILb1ELi64ELi16ELi2E19rocblas_complex_numIfE24rocblas_internal_val_ptrIS1_EPKS1_PS1_EvbiiT4_lT5_lllS8_lllT6_lmli.num_vgpr, 44
	.set _ZL34rocblas_ger_double_buffered_kernelILb1ELi64ELi16ELi2E19rocblas_complex_numIfE24rocblas_internal_val_ptrIS1_EPKS1_PS1_EvbiiT4_lT5_lllS8_lllT6_lmli.num_agpr, 0
	.set _ZL34rocblas_ger_double_buffered_kernelILb1ELi64ELi16ELi2E19rocblas_complex_numIfE24rocblas_internal_val_ptrIS1_EPKS1_PS1_EvbiiT4_lT5_lllS8_lllT6_lmli.numbered_sgpr, 41
	.set _ZL34rocblas_ger_double_buffered_kernelILb1ELi64ELi16ELi2E19rocblas_complex_numIfE24rocblas_internal_val_ptrIS1_EPKS1_PS1_EvbiiT4_lT5_lllS8_lllT6_lmli.num_named_barrier, 0
	.set _ZL34rocblas_ger_double_buffered_kernelILb1ELi64ELi16ELi2E19rocblas_complex_numIfE24rocblas_internal_val_ptrIS1_EPKS1_PS1_EvbiiT4_lT5_lllS8_lllT6_lmli.private_seg_size, 0
	.set _ZL34rocblas_ger_double_buffered_kernelILb1ELi64ELi16ELi2E19rocblas_complex_numIfE24rocblas_internal_val_ptrIS1_EPKS1_PS1_EvbiiT4_lT5_lllS8_lllT6_lmli.uses_vcc, 1
	.set _ZL34rocblas_ger_double_buffered_kernelILb1ELi64ELi16ELi2E19rocblas_complex_numIfE24rocblas_internal_val_ptrIS1_EPKS1_PS1_EvbiiT4_lT5_lllS8_lllT6_lmli.uses_flat_scratch, 0
	.set _ZL34rocblas_ger_double_buffered_kernelILb1ELi64ELi16ELi2E19rocblas_complex_numIfE24rocblas_internal_val_ptrIS1_EPKS1_PS1_EvbiiT4_lT5_lllS8_lllT6_lmli.has_dyn_sized_stack, 0
	.set _ZL34rocblas_ger_double_buffered_kernelILb1ELi64ELi16ELi2E19rocblas_complex_numIfE24rocblas_internal_val_ptrIS1_EPKS1_PS1_EvbiiT4_lT5_lllS8_lllT6_lmli.has_recursion, 0
	.set _ZL34rocblas_ger_double_buffered_kernelILb1ELi64ELi16ELi2E19rocblas_complex_numIfE24rocblas_internal_val_ptrIS1_EPKS1_PS1_EvbiiT4_lT5_lllS8_lllT6_lmli.has_indirect_call, 0
	.section	.AMDGPU.csdata,"",@progbits
; Kernel info:
; codeLenInByte = 1052
; TotalNumSgprs: 43
; NumVgprs: 44
; ScratchSize: 0
; MemoryBound: 0
; FloatMode: 240
; IeeeMode: 1
; LDSByteSize: 0 bytes/workgroup (compile time only)
; SGPRBlocks: 0
; VGPRBlocks: 2
; NumSGPRsForWavesPerEU: 43
; NumVGPRsForWavesPerEU: 44
; NamedBarCnt: 0
; Occupancy: 16
; WaveLimiterHint : 1
; COMPUTE_PGM_RSRC2:SCRATCH_EN: 0
; COMPUTE_PGM_RSRC2:USER_SGPR: 2
; COMPUTE_PGM_RSRC2:TRAP_HANDLER: 0
; COMPUTE_PGM_RSRC2:TGID_X_EN: 1
; COMPUTE_PGM_RSRC2:TGID_Y_EN: 1
; COMPUTE_PGM_RSRC2:TGID_Z_EN: 1
; COMPUTE_PGM_RSRC2:TIDIG_COMP_CNT: 1
	.section	.text._ZL18rocblas_ger_kernelILi32ELi32ELi2ELb1E19rocblas_complex_numIfEPKS1_S3_PS1_EviiT4_lT5_lllS6_lllT6_lmli,"axG",@progbits,_ZL18rocblas_ger_kernelILi32ELi32ELi2ELb1E19rocblas_complex_numIfEPKS1_S3_PS1_EviiT4_lT5_lllS6_lllT6_lmli,comdat
	.globl	_ZL18rocblas_ger_kernelILi32ELi32ELi2ELb1E19rocblas_complex_numIfEPKS1_S3_PS1_EviiT4_lT5_lllS6_lllT6_lmli ; -- Begin function _ZL18rocblas_ger_kernelILi32ELi32ELi2ELb1E19rocblas_complex_numIfEPKS1_S3_PS1_EviiT4_lT5_lllS6_lllT6_lmli
	.p2align	8
	.type	_ZL18rocblas_ger_kernelILi32ELi32ELi2ELb1E19rocblas_complex_numIfEPKS1_S3_PS1_EviiT4_lT5_lllS6_lllT6_lmli,@function
_ZL18rocblas_ger_kernelILi32ELi32ELi2ELb1E19rocblas_complex_numIfEPKS1_S3_PS1_EviiT4_lT5_lllS6_lllT6_lmli: ; @_ZL18rocblas_ger_kernelILi32ELi32ELi2ELb1E19rocblas_complex_numIfEPKS1_S3_PS1_EviiT4_lT5_lllS6_lllT6_lmli
; %bb.0:
	s_load_b32 s33, s[0:1], 0x78
	s_bfe_u32 s2, ttmp6, 0x40014
	s_lshr_b32 s3, ttmp7, 16
	s_add_co_i32 s2, s2, 1
	s_bfe_u32 s5, ttmp6, 0x40008
	s_mul_i32 s4, s3, s2
	s_getreg_b32 s2, hwreg(HW_REG_IB_STS2, 6, 4)
	s_add_co_i32 s5, s5, s4
	s_cmp_eq_u32 s2, 0
	s_mov_b32 s29, 0
	s_cselect_b32 s28, s3, s5
	s_wait_kmcnt 0x0
	s_cmp_ge_u32 s28, s33
	s_cbranch_scc1 .LBB29_18
; %bb.1:
	s_clause 0x1
	s_load_b64 s[30:31], s[0:1], 0x0
	s_load_b128 s[24:27], s[0:1], 0x8
	s_bfe_u32 s6, ttmp6, 0x4000c
	s_and_b32 s5, ttmp6, 15
	s_add_co_i32 s6, s6, 1
	s_load_b256 s[16:23], s[0:1], 0x30
	s_mul_i32 s6, ttmp9, s6
	v_bfe_u32 v17, v0, 10, 10
	s_add_co_i32 s5, s5, s6
	s_load_b256 s[8:15], s[0:1], 0x50
	v_and_b32_e32 v18, 0x3ff, v0
	s_delay_alu instid0(VALU_DEP_2) | instskip(SKIP_2) | instid1(SALU_CYCLE_1)
	v_lshlrev_b32_e32 v16, 4, v17
	s_wait_kmcnt 0x0
	s_add_co_i32 s3, s30, -1
	s_ashr_i32 s4, s3, 31
	s_delay_alu instid0(SALU_CYCLE_1) | instskip(NEXT) | instid1(SALU_CYCLE_1)
	s_lshr_b32 s4, s4, 27
	s_add_co_i32 s3, s3, s4
	s_delay_alu instid0(SALU_CYCLE_1) | instskip(NEXT) | instid1(SALU_CYCLE_1)
	s_ashr_i32 s3, s3, 5
	s_add_co_i32 s34, s3, 1
	s_not_b32 s3, s3
	s_cvt_f32_u32 s4, s34
	s_delay_alu instid0(SALU_CYCLE_3) | instskip(SKIP_1) | instid1(TRANS32_DEP_1)
	v_rcp_iflag_f32_e32 v1, s4
	v_nop
	v_readfirstlane_b32 s4, v1
	v_lshlrev_b32_e32 v1, 1, v17
	s_mul_f32 s4, s4, 0x4f7ffffe
	s_delay_alu instid0(SALU_CYCLE_3) | instskip(NEXT) | instid1(SALU_CYCLE_3)
	s_cvt_u32_f32 s4, s4
	s_mul_i32 s3, s3, s4
	s_delay_alu instid0(SALU_CYCLE_1) | instskip(NEXT) | instid1(SALU_CYCLE_1)
	s_mul_hi_u32 s3, s4, s3
	s_add_co_i32 s4, s4, s3
	s_cmp_eq_u32 s2, 0
	s_cselect_b32 s2, ttmp9, s5
	s_delay_alu instid0(SALU_CYCLE_1) | instskip(SKIP_4) | instid1(SALU_CYCLE_1)
	s_mul_hi_u32 s3, s2, s4
	s_load_b128 s[4:7], s[0:1], 0x20
	s_mul_i32 s35, s3, s34
	s_add_co_i32 s36, s3, 1
	s_sub_co_i32 s35, s2, s35
	s_sub_co_i32 s37, s35, s34
	s_cmp_ge_u32 s35, s34
	s_cselect_b32 s3, s36, s3
	s_cselect_b32 s35, s37, s35
	s_add_co_i32 s36, s3, 1
	s_cmp_ge_u32 s35, s34
	s_cselect_b32 s3, s36, s3
	s_lshl_b64 s[12:13], s[12:13], 3
	s_mul_i32 s34, s3, s34
	v_lshl_add_u32 v6, s3, 6, v1
	s_sub_co_i32 s2, s2, s34
	s_add_nc_u64 s[10:11], s[10:11], s[12:13]
	v_lshl_add_u32 v8, s2, 5, v18
	s_delay_alu instid0(VALU_DEP_2) | instskip(SKIP_1) | instid1(VALU_DEP_3)
	v_dual_mov_b32 v1, 0 :: v_dual_bitop2_b32 v0, v6, v18 bitop3:0x54
	v_dual_ashrrev_i32 v7, 31, v6 :: v_dual_bitop2_b32 v12, 1, v6 bitop3:0x54
	v_ashrrev_i32_e32 v9, 31, v8
	s_load_b64 s[2:3], s[0:1], 0x18
	s_delay_alu instid0(VALU_DEP_3) | instskip(NEXT) | instid1(VALU_DEP_3)
	v_mul_u64_e32 v[10:11], s[22:23], v[0:1]
	v_ashrrev_i32_e32 v13, 31, v12
	v_mul_u64_e32 v[2:3], s[14:15], v[6:7]
	s_wait_kmcnt 0x0
	v_mul_u64_e32 v[14:15], s[6:7], v[8:9]
	v_lshlrev_b32_e32 v7, 3, v18
	s_load_b64 s[6:7], s[0:1], 0x70
	v_mul_u64_e32 v[4:5], s[14:15], v[12:13]
	s_lshl_b64 s[14:15], s[20:21], 3
	s_lshl_b64 s[4:5], s[4:5], 3
	s_add_nc_u64 s[12:13], s[18:19], s[14:15]
	s_wait_xcnt 0x0
	v_cmp_eq_u32_e64 s0, 0, v17
	v_cmp_gt_u32_e64 s1, 2, v18
	v_add_nc_u32_e32 v17, 0x200, v7
	v_add_nc_u32_e32 v18, v16, v7
	s_add_nc_u64 s[14:15], s[2:3], s[4:5]
	v_cmp_gt_i32_e64 s2, s31, v6
	v_cmp_gt_i32_e64 s3, s30, v8
	v_cmp_gt_u32_e64 s4, s31, v0
	v_lshl_add_u64 v[6:7], v[8:9], 3, s[10:11]
	v_cmp_gt_i32_e64 s5, s31, v12
	v_lshl_add_u64 v[8:9], v[10:11], 3, s[12:13]
	v_lshl_add_u64 v[10:11], v[14:15], 3, s[14:15]
	s_branch .LBB29_4
.LBB29_2:                               ;   in Loop: Header=BB29_4 Depth=1
	s_wait_xcnt 0x0
	s_or_b32 exec_lo, exec_lo, s10
.LBB29_3:                               ;   in Loop: Header=BB29_4 Depth=1
	s_add_co_i32 s28, s28, 0x10000
	s_delay_alu instid0(SALU_CYCLE_1)
	s_cmp_lt_u32 s28, s33
	s_cbranch_scc0 .LBB29_18
.LBB29_4:                               ; =>This Inner Loop Header: Depth=1
	s_wait_xcnt 0x0
	s_mul_u64 s[10:11], s[26:27], s[28:29]
	s_delay_alu instid0(SALU_CYCLE_1) | instskip(NEXT) | instid1(SALU_CYCLE_1)
	s_lshl_b64 s[10:11], s[10:11], 3
	s_add_nc_u64 s[10:11], s[24:25], s[10:11]
	global_load_b64 v[12:13], v1, s[10:11]
	s_wait_loadcnt 0x0
	v_or_b32_e32 v0, v12, v13
	s_delay_alu instid0(VALU_DEP_1) | instskip(NEXT) | instid1(VALU_DEP_1)
	v_and_b32_e32 v0, 0x7fffffff, v0
	v_cmp_eq_u32_e32 vcc_lo, 0, v0
	s_cbranch_vccnz .LBB29_3
; %bb.5:                                ;   in Loop: Header=BB29_4 Depth=1
	s_wait_xcnt 0x0
	s_and_saveexec_b32 s10, s0
	s_cbranch_execz .LBB29_9
; %bb.6:                                ;   in Loop: Header=BB29_4 Depth=1
	v_dual_mov_b32 v14, 0 :: v_dual_mov_b32 v15, 0
	s_and_saveexec_b32 s11, s3
	s_cbranch_execz .LBB29_8
; %bb.7:                                ;   in Loop: Header=BB29_4 Depth=1
	s_mul_u64 s[12:13], s[16:17], s[28:29]
	s_delay_alu instid0(SALU_CYCLE_1)
	v_lshl_add_u64 v[14:15], s[12:13], 3, v[10:11]
	global_load_b64 v[14:15], v[14:15], off
.LBB29_8:                               ;   in Loop: Header=BB29_4 Depth=1
	s_wait_xcnt 0x0
	s_or_b32 exec_lo, exec_lo, s11
	s_wait_loadcnt 0x0
	ds_store_b64 v17, v[14:15]
.LBB29_9:                               ;   in Loop: Header=BB29_4 Depth=1
	s_or_b32 exec_lo, exec_lo, s10
	s_and_saveexec_b32 s10, s1
	s_cbranch_execz .LBB29_13
; %bb.10:                               ;   in Loop: Header=BB29_4 Depth=1
	v_dual_mov_b32 v14, 0 :: v_dual_mov_b32 v15, 0
	s_and_saveexec_b32 s11, s4
	s_cbranch_execz .LBB29_12
; %bb.11:                               ;   in Loop: Header=BB29_4 Depth=1
	s_mul_u64 s[12:13], s[8:9], s[28:29]
	s_delay_alu instid0(SALU_CYCLE_1)
	v_lshl_add_u64 v[14:15], s[12:13], 3, v[8:9]
	global_load_b64 v[14:15], v[14:15], off
.LBB29_12:                              ;   in Loop: Header=BB29_4 Depth=1
	s_wait_xcnt 0x0
	s_or_b32 exec_lo, exec_lo, s11
	s_wait_loadcnt 0x0
	ds_store_b64 v18, v[14:15]
.LBB29_13:                              ;   in Loop: Header=BB29_4 Depth=1
	s_or_b32 exec_lo, exec_lo, s10
	s_wait_dscnt 0x0
	s_barrier_signal -1
	s_barrier_wait -1
	s_and_saveexec_b32 s10, s3
	s_cbranch_execz .LBB29_2
; %bb.14:                               ;   in Loop: Header=BB29_4 Depth=1
	ds_load_b64 v[14:15], v17
	s_wait_kmcnt 0x0
	s_mul_u64 s[12:13], s[6:7], s[28:29]
	s_wait_dscnt 0x0
	v_dual_mul_f32 v19, v15, v13 :: v_dual_mul_f32 v0, v15, v12
	s_delay_alu instid0(VALU_DEP_1)
	v_dual_fma_f32 v12, v14, v12, -v19 :: v_dual_fmac_f32 v0, v14, v13
	v_lshl_add_u64 v[14:15], s[12:13], 3, v[6:7]
	s_and_saveexec_b32 s11, s2
	s_cbranch_execz .LBB29_16
; %bb.15:                               ;   in Loop: Header=BB29_4 Depth=1
	s_delay_alu instid0(VALU_DEP_1) | instskip(SKIP_4) | instid1(VALU_DEP_1)
	v_lshl_add_u64 v[20:21], v[2:3], 3, v[14:15]
	ds_load_b64 v[24:25], v16
	global_load_b64 v[22:23], v[20:21], off
	s_wait_dscnt 0x0
	v_pk_mul_f32 v[26:27], v[12:13], v[24:25] op_sel_hi:[0,1]
	v_pk_fma_f32 v[28:29], v[0:1], v[24:25], v[26:27] op_sel:[0,1,0] op_sel_hi:[0,0,1] neg_lo:[0,0,1] neg_hi:[0,0,1]
	v_pk_fma_f32 v[24:25], v[0:1], v[24:25], v[26:27] op_sel:[0,1,0] op_sel_hi:[1,0,1]
	s_delay_alu instid0(VALU_DEP_2) | instskip(SKIP_1) | instid1(VALU_DEP_1)
	v_mov_b32_e32 v25, v29
	s_wait_loadcnt 0x0
	v_pk_add_f32 v[22:23], v[22:23], v[24:25]
	global_store_b64 v[20:21], v[22:23], off
.LBB29_16:                              ;   in Loop: Header=BB29_4 Depth=1
	s_wait_xcnt 0x0
	s_or_b32 exec_lo, exec_lo, s11
	s_delay_alu instid0(SALU_CYCLE_1)
	s_and_b32 exec_lo, exec_lo, s5
	s_cbranch_execz .LBB29_2
; %bb.17:                               ;   in Loop: Header=BB29_4 Depth=1
	v_lshl_add_u64 v[14:15], v[4:5], 3, v[14:15]
	ds_load_b64 v[22:23], v16 offset:8
	global_load_b64 v[20:21], v[14:15], off
	s_wait_dscnt 0x0
	v_pk_mul_f32 v[12:13], v[12:13], v[22:23] op_sel_hi:[0,1]
	s_delay_alu instid0(VALU_DEP_1) | instskip(SKIP_1) | instid1(VALU_DEP_2)
	v_pk_fma_f32 v[24:25], v[0:1], v[22:23], v[12:13] op_sel:[0,1,0] op_sel_hi:[0,0,1] neg_lo:[0,0,1] neg_hi:[0,0,1]
	v_pk_fma_f32 v[12:13], v[0:1], v[22:23], v[12:13] op_sel:[0,1,0] op_sel_hi:[1,0,1]
	v_mov_b32_e32 v13, v25
	s_wait_loadcnt 0x0
	s_delay_alu instid0(VALU_DEP_1)
	v_pk_add_f32 v[12:13], v[20:21], v[12:13]
	global_store_b64 v[14:15], v[12:13], off
	s_branch .LBB29_2
.LBB29_18:
	s_endpgm
	.section	.rodata,"a",@progbits
	.p2align	6, 0x0
	.amdhsa_kernel _ZL18rocblas_ger_kernelILi32ELi32ELi2ELb1E19rocblas_complex_numIfEPKS1_S3_PS1_EviiT4_lT5_lllS6_lllT6_lmli
		.amdhsa_group_segment_fixed_size 768
		.amdhsa_private_segment_fixed_size 0
		.amdhsa_kernarg_size 124
		.amdhsa_user_sgpr_count 2
		.amdhsa_user_sgpr_dispatch_ptr 0
		.amdhsa_user_sgpr_queue_ptr 0
		.amdhsa_user_sgpr_kernarg_segment_ptr 1
		.amdhsa_user_sgpr_dispatch_id 0
		.amdhsa_user_sgpr_kernarg_preload_length 0
		.amdhsa_user_sgpr_kernarg_preload_offset 0
		.amdhsa_user_sgpr_private_segment_size 0
		.amdhsa_wavefront_size32 1
		.amdhsa_uses_dynamic_stack 0
		.amdhsa_enable_private_segment 0
		.amdhsa_system_sgpr_workgroup_id_x 1
		.amdhsa_system_sgpr_workgroup_id_y 0
		.amdhsa_system_sgpr_workgroup_id_z 1
		.amdhsa_system_sgpr_workgroup_info 0
		.amdhsa_system_vgpr_workitem_id 1
		.amdhsa_next_free_vgpr 30
		.amdhsa_next_free_sgpr 38
		.amdhsa_named_barrier_count 0
		.amdhsa_reserve_vcc 1
		.amdhsa_float_round_mode_32 0
		.amdhsa_float_round_mode_16_64 0
		.amdhsa_float_denorm_mode_32 3
		.amdhsa_float_denorm_mode_16_64 3
		.amdhsa_fp16_overflow 0
		.amdhsa_memory_ordered 1
		.amdhsa_forward_progress 1
		.amdhsa_inst_pref_size 9
		.amdhsa_round_robin_scheduling 0
		.amdhsa_exception_fp_ieee_invalid_op 0
		.amdhsa_exception_fp_denorm_src 0
		.amdhsa_exception_fp_ieee_div_zero 0
		.amdhsa_exception_fp_ieee_overflow 0
		.amdhsa_exception_fp_ieee_underflow 0
		.amdhsa_exception_fp_ieee_inexact 0
		.amdhsa_exception_int_div_zero 0
	.end_amdhsa_kernel
	.section	.text._ZL18rocblas_ger_kernelILi32ELi32ELi2ELb1E19rocblas_complex_numIfEPKS1_S3_PS1_EviiT4_lT5_lllS6_lllT6_lmli,"axG",@progbits,_ZL18rocblas_ger_kernelILi32ELi32ELi2ELb1E19rocblas_complex_numIfEPKS1_S3_PS1_EviiT4_lT5_lllS6_lllT6_lmli,comdat
.Lfunc_end29:
	.size	_ZL18rocblas_ger_kernelILi32ELi32ELi2ELb1E19rocblas_complex_numIfEPKS1_S3_PS1_EviiT4_lT5_lllS6_lllT6_lmli, .Lfunc_end29-_ZL18rocblas_ger_kernelILi32ELi32ELi2ELb1E19rocblas_complex_numIfEPKS1_S3_PS1_EviiT4_lT5_lllS6_lllT6_lmli
                                        ; -- End function
	.set _ZL18rocblas_ger_kernelILi32ELi32ELi2ELb1E19rocblas_complex_numIfEPKS1_S3_PS1_EviiT4_lT5_lllS6_lllT6_lmli.num_vgpr, 30
	.set _ZL18rocblas_ger_kernelILi32ELi32ELi2ELb1E19rocblas_complex_numIfEPKS1_S3_PS1_EviiT4_lT5_lllS6_lllT6_lmli.num_agpr, 0
	.set _ZL18rocblas_ger_kernelILi32ELi32ELi2ELb1E19rocblas_complex_numIfEPKS1_S3_PS1_EviiT4_lT5_lllS6_lllT6_lmli.numbered_sgpr, 38
	.set _ZL18rocblas_ger_kernelILi32ELi32ELi2ELb1E19rocblas_complex_numIfEPKS1_S3_PS1_EviiT4_lT5_lllS6_lllT6_lmli.num_named_barrier, 0
	.set _ZL18rocblas_ger_kernelILi32ELi32ELi2ELb1E19rocblas_complex_numIfEPKS1_S3_PS1_EviiT4_lT5_lllS6_lllT6_lmli.private_seg_size, 0
	.set _ZL18rocblas_ger_kernelILi32ELi32ELi2ELb1E19rocblas_complex_numIfEPKS1_S3_PS1_EviiT4_lT5_lllS6_lllT6_lmli.uses_vcc, 1
	.set _ZL18rocblas_ger_kernelILi32ELi32ELi2ELb1E19rocblas_complex_numIfEPKS1_S3_PS1_EviiT4_lT5_lllS6_lllT6_lmli.uses_flat_scratch, 0
	.set _ZL18rocblas_ger_kernelILi32ELi32ELi2ELb1E19rocblas_complex_numIfEPKS1_S3_PS1_EviiT4_lT5_lllS6_lllT6_lmli.has_dyn_sized_stack, 0
	.set _ZL18rocblas_ger_kernelILi32ELi32ELi2ELb1E19rocblas_complex_numIfEPKS1_S3_PS1_EviiT4_lT5_lllS6_lllT6_lmli.has_recursion, 0
	.set _ZL18rocblas_ger_kernelILi32ELi32ELi2ELb1E19rocblas_complex_numIfEPKS1_S3_PS1_EviiT4_lT5_lllS6_lllT6_lmli.has_indirect_call, 0
	.section	.AMDGPU.csdata,"",@progbits
; Kernel info:
; codeLenInByte = 1068
; TotalNumSgprs: 40
; NumVgprs: 30
; ScratchSize: 0
; MemoryBound: 0
; FloatMode: 240
; IeeeMode: 1
; LDSByteSize: 768 bytes/workgroup (compile time only)
; SGPRBlocks: 0
; VGPRBlocks: 1
; NumSGPRsForWavesPerEU: 40
; NumVGPRsForWavesPerEU: 30
; NamedBarCnt: 0
; Occupancy: 16
; WaveLimiterHint : 0
; COMPUTE_PGM_RSRC2:SCRATCH_EN: 0
; COMPUTE_PGM_RSRC2:USER_SGPR: 2
; COMPUTE_PGM_RSRC2:TRAP_HANDLER: 0
; COMPUTE_PGM_RSRC2:TGID_X_EN: 1
; COMPUTE_PGM_RSRC2:TGID_Y_EN: 0
; COMPUTE_PGM_RSRC2:TGID_Z_EN: 1
; COMPUTE_PGM_RSRC2:TIDIG_COMP_CNT: 1
	.section	.text._ZL18rocblas_ger_kernelILi32ELi32ELi2ELb1E19rocblas_complex_numIfES1_PKS1_PS1_EviiT4_lT5_lllS6_lllT6_lmli,"axG",@progbits,_ZL18rocblas_ger_kernelILi32ELi32ELi2ELb1E19rocblas_complex_numIfES1_PKS1_PS1_EviiT4_lT5_lllS6_lllT6_lmli,comdat
	.globl	_ZL18rocblas_ger_kernelILi32ELi32ELi2ELb1E19rocblas_complex_numIfES1_PKS1_PS1_EviiT4_lT5_lllS6_lllT6_lmli ; -- Begin function _ZL18rocblas_ger_kernelILi32ELi32ELi2ELb1E19rocblas_complex_numIfES1_PKS1_PS1_EviiT4_lT5_lllS6_lllT6_lmli
	.p2align	8
	.type	_ZL18rocblas_ger_kernelILi32ELi32ELi2ELb1E19rocblas_complex_numIfES1_PKS1_PS1_EviiT4_lT5_lllS6_lllT6_lmli,@function
_ZL18rocblas_ger_kernelILi32ELi32ELi2ELb1E19rocblas_complex_numIfES1_PKS1_PS1_EviiT4_lT5_lllS6_lllT6_lmli: ; @_ZL18rocblas_ger_kernelILi32ELi32ELi2ELb1E19rocblas_complex_numIfES1_PKS1_PS1_EviiT4_lT5_lllS6_lllT6_lmli
; %bb.0:
	s_load_b32 s30, s[0:1], 0x78
	s_bfe_u32 s2, ttmp6, 0x40014
	s_lshr_b32 s3, ttmp7, 16
	s_add_co_i32 s2, s2, 1
	s_bfe_u32 s5, ttmp6, 0x40008
	s_mul_i32 s4, s3, s2
	s_getreg_b32 s2, hwreg(HW_REG_IB_STS2, 6, 4)
	s_add_co_i32 s5, s5, s4
	s_cmp_eq_u32 s2, 0
	s_mov_b32 s29, 0
	s_cselect_b32 s28, s3, s5
	s_wait_kmcnt 0x0
	s_cmp_ge_u32 s28, s30
	s_cbranch_scc1 .LBB30_18
; %bb.1:
	s_clause 0x1
	s_load_b128 s[4:7], s[0:1], 0x0
	s_load_b128 s[24:27], s[0:1], 0x20
	s_bfe_u32 s10, ttmp6, 0x4000c
	s_and_b32 s9, ttmp6, 15
	s_add_co_i32 s10, s10, 1
	s_load_b256 s[16:23], s[0:1], 0x30
	s_mul_i32 s10, ttmp9, s10
	v_bfe_u32 v12, v0, 10, 10
	s_add_co_i32 s9, s9, s10
	v_and_b32_e32 v16, 0x3ff, v0
	s_delay_alu instid0(VALU_DEP_2) | instskip(SKIP_2) | instid1(SALU_CYCLE_1)
	v_dual_mov_b32 v9, 0 :: v_dual_lshlrev_b32 v13, 4, v12
	s_wait_kmcnt 0x0
	s_add_co_i32 s3, s4, -1
	s_ashr_i32 s8, s3, 31
	s_delay_alu instid0(SALU_CYCLE_1) | instskip(NEXT) | instid1(SALU_CYCLE_1)
	s_lshr_b32 s8, s8, 27
	s_add_co_i32 s3, s3, s8
	s_delay_alu instid0(SALU_CYCLE_1) | instskip(NEXT) | instid1(SALU_CYCLE_1)
	s_ashr_i32 s3, s3, 5
	s_add_co_i32 s31, s3, 1
	s_not_b32 s3, s3
	s_cvt_f32_u32 s8, s31
	s_delay_alu instid0(SALU_CYCLE_3) | instskip(SKIP_1) | instid1(TRANS32_DEP_1)
	v_rcp_iflag_f32_e32 v1, s8
	v_nop
	v_readfirstlane_b32 s8, v1
	v_lshlrev_b32_e32 v1, 1, v12
	s_mul_f32 s8, s8, 0x4f7ffffe
	s_delay_alu instid0(SALU_CYCLE_3) | instskip(NEXT) | instid1(SALU_CYCLE_3)
	s_cvt_u32_f32 s8, s8
	s_mul_i32 s3, s3, s8
	s_delay_alu instid0(SALU_CYCLE_1) | instskip(NEXT) | instid1(SALU_CYCLE_1)
	s_mul_hi_u32 s3, s8, s3
	s_add_co_i32 s3, s8, s3
	s_cmp_eq_u32 s2, 0
	s_cselect_b32 s2, ttmp9, s9
	s_load_b256 s[8:15], s[0:1], 0x50
	s_mul_hi_u32 s3, s2, s3
	s_delay_alu instid0(SALU_CYCLE_1) | instskip(SKIP_2) | instid1(SALU_CYCLE_1)
	s_mul_i32 s33, s3, s31
	s_add_co_i32 s34, s3, 1
	s_sub_co_i32 s33, s2, s33
	s_sub_co_i32 s35, s33, s31
	s_cmp_ge_u32 s33, s31
	s_cselect_b32 s3, s34, s3
	s_cselect_b32 s33, s35, s33
	s_add_co_i32 s34, s3, 1
	s_cmp_ge_u32 s33, s31
	s_cselect_b32 s3, s34, s3
	s_lshl_b64 s[20:21], s[20:21], 3
	s_mul_i32 s31, s3, s31
	v_lshl_add_u32 v4, s3, 6, v1
	s_sub_co_i32 s2, s2, s31
	s_wait_kmcnt 0x0
	s_lshl_b64 s[12:13], s[12:13], 3
	v_lshl_add_u32 v6, s2, 5, v16
	s_load_b64 s[2:3], s[0:1], 0x18
	v_or_b32_e32 v8, v4, v16
	v_dual_ashrrev_i32 v5, 31, v4 :: v_dual_bitop2_b32 v10, 1, v4 bitop3:0x54
	s_delay_alu instid0(VALU_DEP_3) | instskip(SKIP_1) | instid1(VALU_DEP_3)
	v_ashrrev_i32_e32 v7, 31, v6
	s_add_nc_u64 s[10:11], s[10:11], s[12:13]
	v_mul_u64_e32 v[14:15], s[22:23], v[8:9]
	s_delay_alu instid0(VALU_DEP_3)
	v_ashrrev_i32_e32 v11, 31, v10
	v_mul_u64_e32 v[0:1], s[14:15], v[4:5]
	v_mul_u64_e32 v[18:19], s[26:27], v[6:7]
	v_lshlrev_b32_e32 v5, 3, v16
	s_lshl_b64 s[22:23], s[24:25], 3
	v_mul_u64_e32 v[2:3], s[14:15], v[10:11]
	s_load_b64 s[14:15], s[0:1], 0x70
	s_or_b32 s24, s6, s7
	s_add_nc_u64 s[12:13], s[18:19], s[20:21]
	s_bitset0_b32 s24, 31
	s_wait_xcnt 0x0
	v_cmp_eq_u32_e64 s0, 0, v12
	v_cmp_gt_u32_e64 s1, 2, v16
	v_add_nc_u32_e32 v16, 0x200, v5
	s_wait_kmcnt 0x0
	s_add_nc_u64 s[18:19], s[2:3], s[22:23]
	v_add_nc_u32_e32 v17, v13, v5
	v_cmp_gt_i32_e64 s2, s5, v4
	v_cmp_gt_i32_e64 s3, s4, v6
	v_cmp_gt_u32_e64 s4, s5, v8
	v_cmp_gt_i32_e64 s5, s5, v10
	v_lshl_add_u64 v[4:5], v[6:7], 3, s[10:11]
	s_cmp_lg_u32 s24, 0
	s_cselect_b32 s10, -1, 0
	v_lshl_add_u64 v[6:7], v[14:15], 3, s[12:13]
	v_lshl_add_u64 v[8:9], v[18:19], 3, s[18:19]
	s_branch .LBB30_4
.LBB30_2:                               ;   in Loop: Header=BB30_4 Depth=1
	s_wait_xcnt 0x0
	s_or_b32 exec_lo, exec_lo, s11
.LBB30_3:                               ;   in Loop: Header=BB30_4 Depth=1
	s_add_co_i32 s28, s28, 0x10000
	s_delay_alu instid0(SALU_CYCLE_1)
	s_cmp_lt_u32 s28, s30
	s_cbranch_scc0 .LBB30_18
.LBB30_4:                               ; =>This Inner Loop Header: Depth=1
	s_and_not1_b32 vcc_lo, exec_lo, s10
	s_cbranch_vccnz .LBB30_3
; %bb.5:                                ;   in Loop: Header=BB30_4 Depth=1
	s_and_saveexec_b32 s11, s0
	s_cbranch_execz .LBB30_9
; %bb.6:                                ;   in Loop: Header=BB30_4 Depth=1
	v_dual_mov_b32 v10, 0 :: v_dual_mov_b32 v11, 0
	s_and_saveexec_b32 s12, s3
	s_cbranch_execz .LBB30_8
; %bb.7:                                ;   in Loop: Header=BB30_4 Depth=1
	s_mul_u64 s[18:19], s[16:17], s[28:29]
	s_delay_alu instid0(SALU_CYCLE_1)
	v_lshl_add_u64 v[10:11], s[18:19], 3, v[8:9]
	global_load_b64 v[10:11], v[10:11], off
.LBB30_8:                               ;   in Loop: Header=BB30_4 Depth=1
	s_wait_xcnt 0x0
	s_or_b32 exec_lo, exec_lo, s12
	s_wait_loadcnt 0x0
	ds_store_b64 v16, v[10:11]
.LBB30_9:                               ;   in Loop: Header=BB30_4 Depth=1
	s_or_b32 exec_lo, exec_lo, s11
	s_and_saveexec_b32 s11, s1
	s_cbranch_execz .LBB30_13
; %bb.10:                               ;   in Loop: Header=BB30_4 Depth=1
	v_dual_mov_b32 v10, 0 :: v_dual_mov_b32 v11, 0
	s_and_saveexec_b32 s12, s4
	s_cbranch_execz .LBB30_12
; %bb.11:                               ;   in Loop: Header=BB30_4 Depth=1
	s_mul_u64 s[18:19], s[8:9], s[28:29]
	s_delay_alu instid0(SALU_CYCLE_1)
	v_lshl_add_u64 v[10:11], s[18:19], 3, v[6:7]
	global_load_b64 v[10:11], v[10:11], off
.LBB30_12:                              ;   in Loop: Header=BB30_4 Depth=1
	s_wait_xcnt 0x0
	s_or_b32 exec_lo, exec_lo, s12
	s_wait_loadcnt 0x0
	ds_store_b64 v17, v[10:11]
.LBB30_13:                              ;   in Loop: Header=BB30_4 Depth=1
	s_or_b32 exec_lo, exec_lo, s11
	s_wait_dscnt 0x0
	s_barrier_signal -1
	s_barrier_wait -1
	s_and_saveexec_b32 s11, s3
	s_cbranch_execz .LBB30_2
; %bb.14:                               ;   in Loop: Header=BB30_4 Depth=1
	ds_load_b64 v[14:15], v16
	s_mul_u64 s[12:13], s[14:15], s[28:29]
	s_wait_dscnt 0x0
	v_dual_mul_f32 v11, s7, v15 :: v_dual_mul_f32 v10, s6, v15
	s_delay_alu instid0(VALU_DEP_1) | instskip(NEXT) | instid1(VALU_DEP_2)
	v_fma_f32 v12, v14, s6, -v11
	v_fmac_f32_e32 v10, s7, v14
	v_lshl_add_u64 v[14:15], s[12:13], 3, v[4:5]
	s_and_saveexec_b32 s12, s2
	s_cbranch_execz .LBB30_16
; %bb.15:                               ;   in Loop: Header=BB30_4 Depth=1
	s_delay_alu instid0(VALU_DEP_1) | instskip(SKIP_4) | instid1(VALU_DEP_1)
	v_lshl_add_u64 v[18:19], v[0:1], 3, v[14:15]
	ds_load_b64 v[22:23], v13
	global_load_b64 v[20:21], v[18:19], off
	s_wait_dscnt 0x0
	v_pk_mul_f32 v[24:25], v[12:13], v[22:23] op_sel_hi:[0,1]
	v_pk_fma_f32 v[26:27], v[10:11], v[22:23], v[24:25] op_sel:[0,1,0] op_sel_hi:[0,0,1] neg_lo:[0,0,1] neg_hi:[0,0,1]
	v_pk_fma_f32 v[22:23], v[10:11], v[22:23], v[24:25] op_sel:[0,1,0] op_sel_hi:[1,0,1]
	s_delay_alu instid0(VALU_DEP_2) | instskip(SKIP_1) | instid1(VALU_DEP_1)
	v_mov_b32_e32 v23, v27
	s_wait_loadcnt 0x0
	v_pk_add_f32 v[20:21], v[20:21], v[22:23]
	global_store_b64 v[18:19], v[20:21], off
.LBB30_16:                              ;   in Loop: Header=BB30_4 Depth=1
	s_wait_xcnt 0x0
	s_or_b32 exec_lo, exec_lo, s12
	s_delay_alu instid0(SALU_CYCLE_1)
	s_and_b32 exec_lo, exec_lo, s5
	s_cbranch_execz .LBB30_2
; %bb.17:                               ;   in Loop: Header=BB30_4 Depth=1
	v_lshl_add_u64 v[14:15], v[2:3], 3, v[14:15]
	ds_load_b64 v[20:21], v13 offset:8
	global_load_b64 v[18:19], v[14:15], off
	s_wait_dscnt 0x0
	v_pk_mul_f32 v[22:23], v[12:13], v[20:21] op_sel_hi:[0,1]
	s_delay_alu instid0(VALU_DEP_1) | instskip(SKIP_1) | instid1(VALU_DEP_2)
	v_pk_fma_f32 v[24:25], v[10:11], v[20:21], v[22:23] op_sel:[0,1,0] op_sel_hi:[0,0,1] neg_lo:[0,0,1] neg_hi:[0,0,1]
	v_pk_fma_f32 v[10:11], v[10:11], v[20:21], v[22:23] op_sel:[0,1,0] op_sel_hi:[1,0,1]
	v_mov_b32_e32 v11, v25
	s_wait_loadcnt 0x0
	s_delay_alu instid0(VALU_DEP_1)
	v_pk_add_f32 v[10:11], v[18:19], v[10:11]
	global_store_b64 v[14:15], v[10:11], off
	s_branch .LBB30_2
.LBB30_18:
	s_endpgm
	.section	.rodata,"a",@progbits
	.p2align	6, 0x0
	.amdhsa_kernel _ZL18rocblas_ger_kernelILi32ELi32ELi2ELb1E19rocblas_complex_numIfES1_PKS1_PS1_EviiT4_lT5_lllS6_lllT6_lmli
		.amdhsa_group_segment_fixed_size 768
		.amdhsa_private_segment_fixed_size 0
		.amdhsa_kernarg_size 124
		.amdhsa_user_sgpr_count 2
		.amdhsa_user_sgpr_dispatch_ptr 0
		.amdhsa_user_sgpr_queue_ptr 0
		.amdhsa_user_sgpr_kernarg_segment_ptr 1
		.amdhsa_user_sgpr_dispatch_id 0
		.amdhsa_user_sgpr_kernarg_preload_length 0
		.amdhsa_user_sgpr_kernarg_preload_offset 0
		.amdhsa_user_sgpr_private_segment_size 0
		.amdhsa_wavefront_size32 1
		.amdhsa_uses_dynamic_stack 0
		.amdhsa_enable_private_segment 0
		.amdhsa_system_sgpr_workgroup_id_x 1
		.amdhsa_system_sgpr_workgroup_id_y 0
		.amdhsa_system_sgpr_workgroup_id_z 1
		.amdhsa_system_sgpr_workgroup_info 0
		.amdhsa_system_vgpr_workitem_id 1
		.amdhsa_next_free_vgpr 28
		.amdhsa_next_free_sgpr 36
		.amdhsa_named_barrier_count 0
		.amdhsa_reserve_vcc 1
		.amdhsa_float_round_mode_32 0
		.amdhsa_float_round_mode_16_64 0
		.amdhsa_float_denorm_mode_32 3
		.amdhsa_float_denorm_mode_16_64 3
		.amdhsa_fp16_overflow 0
		.amdhsa_memory_ordered 1
		.amdhsa_forward_progress 1
		.amdhsa_inst_pref_size 8
		.amdhsa_round_robin_scheduling 0
		.amdhsa_exception_fp_ieee_invalid_op 0
		.amdhsa_exception_fp_denorm_src 0
		.amdhsa_exception_fp_ieee_div_zero 0
		.amdhsa_exception_fp_ieee_overflow 0
		.amdhsa_exception_fp_ieee_underflow 0
		.amdhsa_exception_fp_ieee_inexact 0
		.amdhsa_exception_int_div_zero 0
	.end_amdhsa_kernel
	.section	.text._ZL18rocblas_ger_kernelILi32ELi32ELi2ELb1E19rocblas_complex_numIfES1_PKS1_PS1_EviiT4_lT5_lllS6_lllT6_lmli,"axG",@progbits,_ZL18rocblas_ger_kernelILi32ELi32ELi2ELb1E19rocblas_complex_numIfES1_PKS1_PS1_EviiT4_lT5_lllS6_lllT6_lmli,comdat
.Lfunc_end30:
	.size	_ZL18rocblas_ger_kernelILi32ELi32ELi2ELb1E19rocblas_complex_numIfES1_PKS1_PS1_EviiT4_lT5_lllS6_lllT6_lmli, .Lfunc_end30-_ZL18rocblas_ger_kernelILi32ELi32ELi2ELb1E19rocblas_complex_numIfES1_PKS1_PS1_EviiT4_lT5_lllS6_lllT6_lmli
                                        ; -- End function
	.set _ZL18rocblas_ger_kernelILi32ELi32ELi2ELb1E19rocblas_complex_numIfES1_PKS1_PS1_EviiT4_lT5_lllS6_lllT6_lmli.num_vgpr, 28
	.set _ZL18rocblas_ger_kernelILi32ELi32ELi2ELb1E19rocblas_complex_numIfES1_PKS1_PS1_EviiT4_lT5_lllS6_lllT6_lmli.num_agpr, 0
	.set _ZL18rocblas_ger_kernelILi32ELi32ELi2ELb1E19rocblas_complex_numIfES1_PKS1_PS1_EviiT4_lT5_lllS6_lllT6_lmli.numbered_sgpr, 36
	.set _ZL18rocblas_ger_kernelILi32ELi32ELi2ELb1E19rocblas_complex_numIfES1_PKS1_PS1_EviiT4_lT5_lllS6_lllT6_lmli.num_named_barrier, 0
	.set _ZL18rocblas_ger_kernelILi32ELi32ELi2ELb1E19rocblas_complex_numIfES1_PKS1_PS1_EviiT4_lT5_lllS6_lllT6_lmli.private_seg_size, 0
	.set _ZL18rocblas_ger_kernelILi32ELi32ELi2ELb1E19rocblas_complex_numIfES1_PKS1_PS1_EviiT4_lT5_lllS6_lllT6_lmli.uses_vcc, 1
	.set _ZL18rocblas_ger_kernelILi32ELi32ELi2ELb1E19rocblas_complex_numIfES1_PKS1_PS1_EviiT4_lT5_lllS6_lllT6_lmli.uses_flat_scratch, 0
	.set _ZL18rocblas_ger_kernelILi32ELi32ELi2ELb1E19rocblas_complex_numIfES1_PKS1_PS1_EviiT4_lT5_lllS6_lllT6_lmli.has_dyn_sized_stack, 0
	.set _ZL18rocblas_ger_kernelILi32ELi32ELi2ELb1E19rocblas_complex_numIfES1_PKS1_PS1_EviiT4_lT5_lllS6_lllT6_lmli.has_recursion, 0
	.set _ZL18rocblas_ger_kernelILi32ELi32ELi2ELb1E19rocblas_complex_numIfES1_PKS1_PS1_EviiT4_lT5_lllS6_lllT6_lmli.has_indirect_call, 0
	.section	.AMDGPU.csdata,"",@progbits
; Kernel info:
; codeLenInByte = 1020
; TotalNumSgprs: 38
; NumVgprs: 28
; ScratchSize: 0
; MemoryBound: 0
; FloatMode: 240
; IeeeMode: 1
; LDSByteSize: 768 bytes/workgroup (compile time only)
; SGPRBlocks: 0
; VGPRBlocks: 1
; NumSGPRsForWavesPerEU: 38
; NumVGPRsForWavesPerEU: 28
; NamedBarCnt: 0
; Occupancy: 16
; WaveLimiterHint : 1
; COMPUTE_PGM_RSRC2:SCRATCH_EN: 0
; COMPUTE_PGM_RSRC2:USER_SGPR: 2
; COMPUTE_PGM_RSRC2:TRAP_HANDLER: 0
; COMPUTE_PGM_RSRC2:TGID_X_EN: 1
; COMPUTE_PGM_RSRC2:TGID_Y_EN: 0
; COMPUTE_PGM_RSRC2:TGID_Z_EN: 1
; COMPUTE_PGM_RSRC2:TIDIG_COMP_CNT: 1
	.section	.text._ZL34rocblas_ger_double_buffered_kernelILb1ELi64ELi16ELi2E19rocblas_complex_numIdE24rocblas_internal_val_ptrIS1_EPKS1_PS1_EvbiiT4_lT5_lllS8_lllT6_lmli,"axG",@progbits,_ZL34rocblas_ger_double_buffered_kernelILb1ELi64ELi16ELi2E19rocblas_complex_numIdE24rocblas_internal_val_ptrIS1_EPKS1_PS1_EvbiiT4_lT5_lllS8_lllT6_lmli,comdat
	.globl	_ZL34rocblas_ger_double_buffered_kernelILb1ELi64ELi16ELi2E19rocblas_complex_numIdE24rocblas_internal_val_ptrIS1_EPKS1_PS1_EvbiiT4_lT5_lllS8_lllT6_lmli ; -- Begin function _ZL34rocblas_ger_double_buffered_kernelILb1ELi64ELi16ELi2E19rocblas_complex_numIdE24rocblas_internal_val_ptrIS1_EPKS1_PS1_EvbiiT4_lT5_lllS8_lllT6_lmli
	.p2align	8
	.type	_ZL34rocblas_ger_double_buffered_kernelILb1ELi64ELi16ELi2E19rocblas_complex_numIdE24rocblas_internal_val_ptrIS1_EPKS1_PS1_EvbiiT4_lT5_lllS8_lllT6_lmli,@function
_ZL34rocblas_ger_double_buffered_kernelILb1ELi64ELi16ELi2E19rocblas_complex_numIdE24rocblas_internal_val_ptrIS1_EPKS1_PS1_EvbiiT4_lT5_lllS8_lllT6_lmli: ; @_ZL34rocblas_ger_double_buffered_kernelILb1ELi64ELi16ELi2E19rocblas_complex_numIdE24rocblas_internal_val_ptrIS1_EPKS1_PS1_EvbiiT4_lT5_lllS8_lllT6_lmli
; %bb.0:
	s_load_b32 s33, s[0:1], 0x88
	s_bfe_u32 s2, ttmp6, 0x40014
	s_lshr_b32 s3, ttmp7, 16
	s_add_co_i32 s2, s2, 1
	s_bfe_u32 s4, ttmp6, 0x40008
	s_mul_i32 s2, s3, s2
	s_getreg_b32 s36, hwreg(HW_REG_IB_STS2, 6, 4)
	s_add_co_i32 s4, s4, s2
	s_cmp_eq_u32 s36, 0
	s_cselect_b32 s2, s3, s4
	s_mov_b32 s3, 0
	s_wait_kmcnt 0x0
	s_cmp_ge_u32 s2, s33
	s_cbranch_scc1 .LBB31_7
; %bb.1:
	v_dual_lshrrev_b32 v1, 4, v0 :: v_dual_mov_b32 v9, 0
	s_clause 0x1
	s_load_b256 s[4:11], s[0:1], 0x20
	s_load_b256 s[12:19], s[0:1], 0x60
	v_and_b32_e32 v2, 0x3ff, v0
	s_load_b256 s[20:27], s[0:1], 0x40
	v_and_b32_e32 v1, 0xffc0, v1
	s_clause 0x2
	s_load_b32 s37, s[0:1], 0x0
	s_load_b128 s[28:31], s[0:1], 0x10
	s_load_b64 s[34:35], s[0:1], 0x80
	s_wait_xcnt 0x0
	s_mov_b32 s1, s3
	v_dual_add_nc_u32 v1, v1, v2 :: v_dual_bitop2_b32 v10, 31, v0 bitop3:0x40
	v_dual_mov_b32 v11, v9 :: v_dual_mov_b32 v3, v9
	s_delay_alu instid0(VALU_DEP_2) | instskip(NEXT) | instid1(VALU_DEP_1)
	v_dual_lshrrev_b32 v6, 4, v1 :: v_dual_bitop2_b32 v2, 32, v10 bitop3:0x54
	v_and_b32_e32 v8, 0x1ffe, v6
	s_wait_kmcnt 0x0
	s_delay_alu instid0(VALU_DEP_3) | instskip(NEXT) | instid1(VALU_DEP_3)
	v_mul_u64_e32 v[0:1], s[10:11], v[10:11]
	v_mul_u64_e32 v[2:3], s[10:11], v[2:3]
	s_delay_alu instid0(VALU_DEP_3)
	v_mul_u64_e32 v[12:13], s[18:19], v[8:9]
	v_mul_u64_e32 v[4:5], s[26:27], v[8:9]
	v_or_b32_e32 v8, 1, v6
	s_bitcmp1_b32 s37, 0
	s_cselect_b32 s0, -1, 0
	s_bfe_u32 s38, ttmp6, 0x4000c
	s_bfe_u32 s40, ttmp6, 0x40010
	v_mul_u64_e32 v[6:7], s[26:27], v[8:9]
	s_and_b32 s39, ttmp7, 0xffff
	s_add_co_i32 s38, s38, 1
	s_add_co_i32 s40, s40, 1
	s_and_b32 s37, ttmp6, 15
	s_bfe_u32 s41, ttmp6, 0x40004
	s_xor_b32 s42, s0, -1
	s_mul_i32 s0, ttmp9, s38
	s_mul_i32 s38, s39, s40
	s_lshl_b64 s[16:17], s[16:17], 4
	s_lshl_b64 s[24:25], s[24:25], 4
	;; [unrolled: 1-line block ×3, first 2 shown]
	s_add_co_i32 s37, s37, s0
	s_add_co_i32 s41, s41, s38
	s_cmp_eq_u32 s36, 0
	s_add_nc_u64 s[14:15], s[14:15], s[16:17]
	s_cselect_b32 s0, ttmp9, s37
	s_cselect_b32 s17, s39, s41
	s_lshl_b32 s16, s0, 6
	s_lshl_b32 s0, s17, 6
	s_ashr_i32 s17, s16, 31
	s_mul_u64 s[36:37], s[18:19], s[0:1]
	s_lshl_b64 s[38:39], s[16:17], 4
	s_lshl_b64 s[36:37], s[36:37], 4
	s_add_nc_u64 s[14:15], s[14:15], s[38:39]
	v_lshlrev_b32_e32 v8, 4, v10
	s_add_nc_u64 s[14:15], s[14:15], s[36:37]
	s_mul_u64 s[10:11], s[10:11], s[16:17]
	v_lshl_add_u64 v[10:11], v[12:13], 4, s[14:15]
	v_cndmask_b32_e64 v12, 0, 1, s42
	s_add_nc_u64 s[6:7], s[6:7], s[8:9]
	s_lshl_b64 s[8:9], s[10:11], 4
	s_mul_u64 s[10:11], s[26:27], s[0:1]
	v_add_nc_u64_e32 v[8:9], v[10:11], v[8:9]
	v_cmp_ne_u32_e64 s0, 1, v12
	s_add_nc_u64 s[22:23], s[22:23], s[24:25]
	s_lshl_b64 s[10:11], s[10:11], 4
	s_add_nc_u64 s[6:7], s[6:7], s[8:9]
	s_add_nc_u64 s[14:15], s[22:23], s[10:11]
	s_branch .LBB31_3
.LBB31_2:                               ;   in Loop: Header=BB31_3 Depth=1
	s_add_co_i32 s2, s2, 0x10000
	s_delay_alu instid0(SALU_CYCLE_1)
	s_cmp_lt_u32 s2, s33
	s_cbranch_scc0 .LBB31_7
.LBB31_3:                               ; =>This Inner Loop Header: Depth=1
	s_and_b32 vcc_lo, exec_lo, s0
	s_mov_b64 s[8:9], s[28:29]
	s_mov_b64 s[10:11], s[30:31]
	s_cbranch_vccnz .LBB31_5
; %bb.4:                                ;   in Loop: Header=BB31_3 Depth=1
	s_mul_u64 s[8:9], s[4:5], s[2:3]
	s_delay_alu instid0(SALU_CYCLE_1) | instskip(NEXT) | instid1(SALU_CYCLE_1)
	s_lshl_b64 s[8:9], s[8:9], 4
	s_add_nc_u64 s[16:17], s[28:29], s[8:9]
	s_load_b128 s[8:11], s[16:17], 0x0
.LBB31_5:                               ;   in Loop: Header=BB31_3 Depth=1
	s_wait_kmcnt 0x0
	v_cmp_neq_f64_e64 s1, s[8:9], 0
	s_wait_xcnt 0x0
	v_cmp_neq_f64_e64 s16, s[10:11], 0
	s_or_b32 s1, s1, s16
	s_delay_alu instid0(SALU_CYCLE_1)
	s_and_not1_b32 vcc_lo, exec_lo, s1
	s_cbranch_vccnz .LBB31_2
; %bb.6:                                ;   in Loop: Header=BB31_3 Depth=1
	s_mul_u64 s[16:17], s[20:21], s[2:3]
	s_delay_alu instid0(SALU_CYCLE_1) | instskip(NEXT) | instid1(SALU_CYCLE_1)
	s_lshl_b64 s[16:17], s[16:17], 4
	s_add_nc_u64 s[16:17], s[6:7], s[16:17]
	s_delay_alu instid0(SALU_CYCLE_1) | instskip(SKIP_2) | instid1(SALU_CYCLE_1)
	v_lshl_add_u64 v[10:11], v[0:1], 4, s[16:17]
	v_lshl_add_u64 v[14:15], v[2:3], 4, s[16:17]
	s_mul_u64 s[16:17], s[12:13], s[2:3]
	s_lshl_b64 s[16:17], s[16:17], 4
	s_clause 0x1
	global_load_b128 v[10:13], v[10:11], off
	global_load_b128 v[14:17], v[14:15], off
	s_add_nc_u64 s[16:17], s[14:15], s[16:17]
	s_delay_alu instid0(SALU_CYCLE_1)
	v_lshl_add_u64 v[26:27], v[4:5], 4, s[16:17]
	v_lshl_add_u64 v[28:29], v[6:7], 4, s[16:17]
	s_clause 0x1
	global_load_b128 v[18:21], v[26:27], off
	global_load_b128 v[22:25], v[28:29], off
	s_mul_u64 s[16:17], s[34:35], s[2:3]
	s_delay_alu instid0(SALU_CYCLE_1) | instskip(NEXT) | instid1(VALU_DEP_1)
	v_lshl_add_u64 v[42:43], s[16:17], 4, v[8:9]
	v_lshl_add_u64 v[44:45], s[18:19], 4, v[42:43]
	s_clause 0x3
	global_load_b128 v[26:29], v[42:43], off
	global_load_b128 v[30:33], v[44:45], off
	global_load_b128 v[34:37], v[42:43], off offset:512
	global_load_b128 v[38:41], v[44:45], off offset:512
	s_wait_loadcnt 0x7
	v_mul_f64_e32 v[46:47], s[8:9], v[12:13]
	v_mul_f64_e32 v[12:13], s[10:11], v[12:13]
	s_wait_loadcnt 0x6
	v_mul_f64_e32 v[48:49], s[8:9], v[16:17]
	v_mul_f64_e32 v[16:17], s[10:11], v[16:17]
	s_delay_alu instid0(VALU_DEP_4) | instskip(NEXT) | instid1(VALU_DEP_4)
	v_fmac_f64_e32 v[46:47], s[10:11], v[10:11]
	v_fma_f64 v[10:11], s[8:9], v[10:11], -v[12:13]
	s_delay_alu instid0(VALU_DEP_4) | instskip(NEXT) | instid1(VALU_DEP_4)
	v_fmac_f64_e32 v[48:49], s[10:11], v[14:15]
	v_fma_f64 v[12:13], s[8:9], v[14:15], -v[16:17]
	s_wait_loadcnt 0x5
	s_delay_alu instid0(VALU_DEP_4)
	v_mul_f64_e32 v[14:15], v[46:47], v[20:21]
	s_wait_loadcnt 0x4
	v_mul_f64_e32 v[16:17], v[46:47], v[24:25]
	v_mul_f64_e32 v[50:51], v[10:11], v[20:21]
	;; [unrolled: 1-line block ×6, first 2 shown]
	v_fmac_f64_e32 v[14:15], v[10:11], v[18:19]
	v_fmac_f64_e32 v[16:17], v[10:11], v[22:23]
	v_mul_f64_e32 v[10:11], v[12:13], v[24:25]
	v_fma_f64 v[24:25], v[46:47], v[18:19], -v[50:51]
	v_fma_f64 v[46:47], v[46:47], v[22:23], -v[52:53]
	v_fmac_f64_e32 v[54:55], v[12:13], v[18:19]
	v_fma_f64 v[20:21], v[48:49], v[18:19], -v[20:21]
	v_fmac_f64_e32 v[56:57], v[12:13], v[22:23]
	v_fma_f64 v[48:49], v[48:49], v[22:23], -v[10:11]
	s_wait_loadcnt 0x3
	v_add_f64_e32 v[10:11], v[26:27], v[14:15]
	v_add_f64_e32 v[12:13], v[24:25], v[28:29]
	s_wait_loadcnt 0x2
	v_add_f64_e32 v[14:15], v[30:31], v[16:17]
	v_add_f64_e32 v[16:17], v[46:47], v[32:33]
	;; [unrolled: 3-line block ×4, first 2 shown]
	s_clause 0x3
	global_store_b128 v[42:43], v[10:13], off
	global_store_b128 v[44:45], v[14:17], off
	global_store_b128 v[42:43], v[18:21], off offset:512
	global_store_b128 v[44:45], v[22:25], off offset:512
	s_branch .LBB31_2
.LBB31_7:
	s_endpgm
	.section	.rodata,"a",@progbits
	.p2align	6, 0x0
	.amdhsa_kernel _ZL34rocblas_ger_double_buffered_kernelILb1ELi64ELi16ELi2E19rocblas_complex_numIdE24rocblas_internal_val_ptrIS1_EPKS1_PS1_EvbiiT4_lT5_lllS8_lllT6_lmli
		.amdhsa_group_segment_fixed_size 0
		.amdhsa_private_segment_fixed_size 0
		.amdhsa_kernarg_size 140
		.amdhsa_user_sgpr_count 2
		.amdhsa_user_sgpr_dispatch_ptr 0
		.amdhsa_user_sgpr_queue_ptr 0
		.amdhsa_user_sgpr_kernarg_segment_ptr 1
		.amdhsa_user_sgpr_dispatch_id 0
		.amdhsa_user_sgpr_kernarg_preload_length 0
		.amdhsa_user_sgpr_kernarg_preload_offset 0
		.amdhsa_user_sgpr_private_segment_size 0
		.amdhsa_wavefront_size32 1
		.amdhsa_uses_dynamic_stack 0
		.amdhsa_enable_private_segment 0
		.amdhsa_system_sgpr_workgroup_id_x 1
		.amdhsa_system_sgpr_workgroup_id_y 1
		.amdhsa_system_sgpr_workgroup_id_z 1
		.amdhsa_system_sgpr_workgroup_info 0
		.amdhsa_system_vgpr_workitem_id 1
		.amdhsa_next_free_vgpr 58
		.amdhsa_next_free_sgpr 43
		.amdhsa_named_barrier_count 0
		.amdhsa_reserve_vcc 1
		.amdhsa_float_round_mode_32 0
		.amdhsa_float_round_mode_16_64 0
		.amdhsa_float_denorm_mode_32 3
		.amdhsa_float_denorm_mode_16_64 3
		.amdhsa_fp16_overflow 0
		.amdhsa_memory_ordered 1
		.amdhsa_forward_progress 1
		.amdhsa_inst_pref_size 8
		.amdhsa_round_robin_scheduling 0
		.amdhsa_exception_fp_ieee_invalid_op 0
		.amdhsa_exception_fp_denorm_src 0
		.amdhsa_exception_fp_ieee_div_zero 0
		.amdhsa_exception_fp_ieee_overflow 0
		.amdhsa_exception_fp_ieee_underflow 0
		.amdhsa_exception_fp_ieee_inexact 0
		.amdhsa_exception_int_div_zero 0
	.end_amdhsa_kernel
	.section	.text._ZL34rocblas_ger_double_buffered_kernelILb1ELi64ELi16ELi2E19rocblas_complex_numIdE24rocblas_internal_val_ptrIS1_EPKS1_PS1_EvbiiT4_lT5_lllS8_lllT6_lmli,"axG",@progbits,_ZL34rocblas_ger_double_buffered_kernelILb1ELi64ELi16ELi2E19rocblas_complex_numIdE24rocblas_internal_val_ptrIS1_EPKS1_PS1_EvbiiT4_lT5_lllS8_lllT6_lmli,comdat
.Lfunc_end31:
	.size	_ZL34rocblas_ger_double_buffered_kernelILb1ELi64ELi16ELi2E19rocblas_complex_numIdE24rocblas_internal_val_ptrIS1_EPKS1_PS1_EvbiiT4_lT5_lllS8_lllT6_lmli, .Lfunc_end31-_ZL34rocblas_ger_double_buffered_kernelILb1ELi64ELi16ELi2E19rocblas_complex_numIdE24rocblas_internal_val_ptrIS1_EPKS1_PS1_EvbiiT4_lT5_lllS8_lllT6_lmli
                                        ; -- End function
	.set _ZL34rocblas_ger_double_buffered_kernelILb1ELi64ELi16ELi2E19rocblas_complex_numIdE24rocblas_internal_val_ptrIS1_EPKS1_PS1_EvbiiT4_lT5_lllS8_lllT6_lmli.num_vgpr, 58
	.set _ZL34rocblas_ger_double_buffered_kernelILb1ELi64ELi16ELi2E19rocblas_complex_numIdE24rocblas_internal_val_ptrIS1_EPKS1_PS1_EvbiiT4_lT5_lllS8_lllT6_lmli.num_agpr, 0
	.set _ZL34rocblas_ger_double_buffered_kernelILb1ELi64ELi16ELi2E19rocblas_complex_numIdE24rocblas_internal_val_ptrIS1_EPKS1_PS1_EvbiiT4_lT5_lllS8_lllT6_lmli.numbered_sgpr, 43
	.set _ZL34rocblas_ger_double_buffered_kernelILb1ELi64ELi16ELi2E19rocblas_complex_numIdE24rocblas_internal_val_ptrIS1_EPKS1_PS1_EvbiiT4_lT5_lllS8_lllT6_lmli.num_named_barrier, 0
	.set _ZL34rocblas_ger_double_buffered_kernelILb1ELi64ELi16ELi2E19rocblas_complex_numIdE24rocblas_internal_val_ptrIS1_EPKS1_PS1_EvbiiT4_lT5_lllS8_lllT6_lmli.private_seg_size, 0
	.set _ZL34rocblas_ger_double_buffered_kernelILb1ELi64ELi16ELi2E19rocblas_complex_numIdE24rocblas_internal_val_ptrIS1_EPKS1_PS1_EvbiiT4_lT5_lllS8_lllT6_lmli.uses_vcc, 1
	.set _ZL34rocblas_ger_double_buffered_kernelILb1ELi64ELi16ELi2E19rocblas_complex_numIdE24rocblas_internal_val_ptrIS1_EPKS1_PS1_EvbiiT4_lT5_lllS8_lllT6_lmli.uses_flat_scratch, 0
	.set _ZL34rocblas_ger_double_buffered_kernelILb1ELi64ELi16ELi2E19rocblas_complex_numIdE24rocblas_internal_val_ptrIS1_EPKS1_PS1_EvbiiT4_lT5_lllS8_lllT6_lmli.has_dyn_sized_stack, 0
	.set _ZL34rocblas_ger_double_buffered_kernelILb1ELi64ELi16ELi2E19rocblas_complex_numIdE24rocblas_internal_val_ptrIS1_EPKS1_PS1_EvbiiT4_lT5_lllS8_lllT6_lmli.has_recursion, 0
	.set _ZL34rocblas_ger_double_buffered_kernelILb1ELi64ELi16ELi2E19rocblas_complex_numIdE24rocblas_internal_val_ptrIS1_EPKS1_PS1_EvbiiT4_lT5_lllS8_lllT6_lmli.has_indirect_call, 0
	.section	.AMDGPU.csdata,"",@progbits
; Kernel info:
; codeLenInByte = 1000
; TotalNumSgprs: 45
; NumVgprs: 58
; ScratchSize: 0
; MemoryBound: 1
; FloatMode: 240
; IeeeMode: 1
; LDSByteSize: 0 bytes/workgroup (compile time only)
; SGPRBlocks: 0
; VGPRBlocks: 3
; NumSGPRsForWavesPerEU: 45
; NumVGPRsForWavesPerEU: 58
; NamedBarCnt: 0
; Occupancy: 16
; WaveLimiterHint : 0
; COMPUTE_PGM_RSRC2:SCRATCH_EN: 0
; COMPUTE_PGM_RSRC2:USER_SGPR: 2
; COMPUTE_PGM_RSRC2:TRAP_HANDLER: 0
; COMPUTE_PGM_RSRC2:TGID_X_EN: 1
; COMPUTE_PGM_RSRC2:TGID_Y_EN: 1
; COMPUTE_PGM_RSRC2:TGID_Z_EN: 1
; COMPUTE_PGM_RSRC2:TIDIG_COMP_CNT: 1
	.section	.text._ZL18rocblas_ger_kernelILi32ELi32ELi2ELb1E19rocblas_complex_numIdEPKS1_S3_PS1_EviiT4_lT5_lllS6_lllT6_lmli,"axG",@progbits,_ZL18rocblas_ger_kernelILi32ELi32ELi2ELb1E19rocblas_complex_numIdEPKS1_S3_PS1_EviiT4_lT5_lllS6_lllT6_lmli,comdat
	.globl	_ZL18rocblas_ger_kernelILi32ELi32ELi2ELb1E19rocblas_complex_numIdEPKS1_S3_PS1_EviiT4_lT5_lllS6_lllT6_lmli ; -- Begin function _ZL18rocblas_ger_kernelILi32ELi32ELi2ELb1E19rocblas_complex_numIdEPKS1_S3_PS1_EviiT4_lT5_lllS6_lllT6_lmli
	.p2align	8
	.type	_ZL18rocblas_ger_kernelILi32ELi32ELi2ELb1E19rocblas_complex_numIdEPKS1_S3_PS1_EviiT4_lT5_lllS6_lllT6_lmli,@function
_ZL18rocblas_ger_kernelILi32ELi32ELi2ELb1E19rocblas_complex_numIdEPKS1_S3_PS1_EviiT4_lT5_lllS6_lllT6_lmli: ; @_ZL18rocblas_ger_kernelILi32ELi32ELi2ELb1E19rocblas_complex_numIdEPKS1_S3_PS1_EviiT4_lT5_lllS6_lllT6_lmli
; %bb.0:
	s_load_b32 s33, s[0:1], 0x78
	s_bfe_u32 s2, ttmp6, 0x40014
	s_lshr_b32 s3, ttmp7, 16
	s_add_co_i32 s2, s2, 1
	s_bfe_u32 s5, ttmp6, 0x40008
	s_mul_i32 s4, s3, s2
	s_getreg_b32 s2, hwreg(HW_REG_IB_STS2, 6, 4)
	s_add_co_i32 s5, s5, s4
	s_cmp_eq_u32 s2, 0
	s_mov_b32 s29, 0
	s_cselect_b32 s28, s3, s5
	s_wait_kmcnt 0x0
	s_cmp_ge_u32 s28, s33
	s_cbranch_scc1 .LBB32_18
; %bb.1:
	s_clause 0x1
	s_load_b64 s[30:31], s[0:1], 0x0
	s_load_b128 s[24:27], s[0:1], 0x8
	s_bfe_u32 s6, ttmp6, 0x4000c
	s_and_b32 s5, ttmp6, 15
	s_add_co_i32 s6, s6, 1
	s_load_b256 s[16:23], s[0:1], 0x30
	s_mul_i32 s6, ttmp9, s6
	v_bfe_u32 v14, v0, 10, 10
	s_add_co_i32 s5, s5, s6
	s_load_b256 s[8:15], s[0:1], 0x50
	v_and_b32_e32 v15, 0x3ff, v0
	s_delay_alu instid0(VALU_DEP_2) | instskip(SKIP_2) | instid1(SALU_CYCLE_1)
	v_dual_mov_b32 v9, 0 :: v_dual_lshlrev_b32 v20, 5, v14
	s_wait_kmcnt 0x0
	s_add_co_i32 s3, s30, -1
	s_ashr_i32 s4, s3, 31
	s_delay_alu instid0(SALU_CYCLE_1) | instskip(NEXT) | instid1(SALU_CYCLE_1)
	s_lshr_b32 s4, s4, 27
	s_add_co_i32 s3, s3, s4
	s_delay_alu instid0(SALU_CYCLE_1) | instskip(NEXT) | instid1(SALU_CYCLE_1)
	s_ashr_i32 s3, s3, 5
	s_add_co_i32 s34, s3, 1
	s_not_b32 s3, s3
	s_cvt_f32_u32 s4, s34
	s_delay_alu instid0(SALU_CYCLE_3) | instskip(SKIP_1) | instid1(TRANS32_DEP_1)
	v_rcp_iflag_f32_e32 v1, s4
	v_nop
	v_readfirstlane_b32 s4, v1
	v_lshlrev_b32_e32 v1, 1, v14
	s_mul_f32 s4, s4, 0x4f7ffffe
	s_delay_alu instid0(SALU_CYCLE_3) | instskip(NEXT) | instid1(SALU_CYCLE_3)
	s_cvt_u32_f32 s4, s4
	s_mul_i32 s3, s3, s4
	s_delay_alu instid0(SALU_CYCLE_1) | instskip(NEXT) | instid1(SALU_CYCLE_1)
	s_mul_hi_u32 s3, s4, s3
	s_add_co_i32 s4, s4, s3
	s_cmp_eq_u32 s2, 0
	s_cselect_b32 s2, ttmp9, s5
	s_delay_alu instid0(SALU_CYCLE_1) | instskip(SKIP_4) | instid1(SALU_CYCLE_1)
	s_mul_hi_u32 s3, s2, s4
	s_load_b128 s[4:7], s[0:1], 0x20
	s_mul_i32 s35, s3, s34
	s_add_co_i32 s36, s3, 1
	s_sub_co_i32 s35, s2, s35
	s_sub_co_i32 s37, s35, s34
	s_cmp_ge_u32 s35, s34
	s_cselect_b32 s3, s36, s3
	s_cselect_b32 s35, s37, s35
	s_add_co_i32 s36, s3, 1
	s_cmp_ge_u32 s35, s34
	s_cselect_b32 s3, s36, s3
	s_delay_alu instid0(SALU_CYCLE_1) | instskip(SKIP_2) | instid1(SALU_CYCLE_1)
	s_mul_i32 s34, s3, s34
	v_lshl_add_u32 v0, s3, 6, v1
	s_sub_co_i32 s2, s2, s34
	v_lshl_add_u32 v2, s2, 5, v15
	s_load_b64 s[2:3], s[0:1], 0x18
	s_delay_alu instid0(VALU_DEP_2) | instskip(SKIP_1) | instid1(VALU_DEP_3)
	v_or_b32_e32 v8, v0, v15
	v_dual_ashrrev_i32 v1, 31, v0 :: v_dual_bitop2_b32 v4, 1, v0 bitop3:0x54
	v_ashrrev_i32_e32 v3, 31, v2
	s_wait_kmcnt 0x0
	s_lshl_b64 s[4:5], s[4:5], 4
	v_mul_u64_e32 v[6:7], s[22:23], v[8:9]
	v_ashrrev_i32_e32 v5, 31, v4
	v_mul_u64_e32 v[10:11], s[14:15], v[0:1]
	v_mul_u64_e32 v[18:19], s[6:7], v[2:3]
	v_lshlrev_b32_e32 v1, 4, v15
	s_lshl_b64 s[6:7], s[12:13], 4
	v_mul_u64_e32 v[12:13], s[14:15], v[4:5]
	s_load_b64 s[14:15], s[0:1], 0x70
	s_lshl_b64 s[12:13], s[20:21], 4
	s_add_nc_u64 s[6:7], s[10:11], s[6:7]
	s_add_nc_u64 s[10:11], s[18:19], s[12:13]
	s_wait_xcnt 0x0
	v_cmp_eq_u32_e64 s0, 0, v14
	v_cmp_gt_u32_e64 s1, 2, v15
	v_add_nc_u32_e32 v21, 0x400, v1
	s_add_nc_u64 s[12:13], s[2:3], s[4:5]
	v_add_nc_u32_e32 v22, v20, v1
	v_cmp_gt_i32_e64 s2, s31, v0
	v_cmp_gt_i32_e64 s3, s30, v2
	v_cmp_gt_u32_e64 s4, s31, v8
	v_lshl_add_u64 v[14:15], v[2:3], 4, s[6:7]
	v_cmp_gt_i32_e64 s5, s31, v4
	v_lshl_add_u64 v[16:17], v[6:7], 4, s[10:11]
	v_lshl_add_u64 v[18:19], v[18:19], 4, s[12:13]
	s_branch .LBB32_4
.LBB32_2:                               ;   in Loop: Header=BB32_4 Depth=1
	s_wait_xcnt 0x0
	s_or_b32 exec_lo, exec_lo, s6
.LBB32_3:                               ;   in Loop: Header=BB32_4 Depth=1
	s_add_co_i32 s28, s28, 0x10000
	s_delay_alu instid0(SALU_CYCLE_1)
	s_cmp_lt_u32 s28, s33
	s_cbranch_scc0 .LBB32_18
.LBB32_4:                               ; =>This Inner Loop Header: Depth=1
	s_mul_u64 s[6:7], s[26:27], s[28:29]
	s_delay_alu instid0(SALU_CYCLE_1) | instskip(NEXT) | instid1(SALU_CYCLE_1)
	s_lshl_b64 s[6:7], s[6:7], 4
	s_add_nc_u64 s[6:7], s[24:25], s[6:7]
	global_load_b128 v[0:3], v9, s[6:7]
	s_wait_loadcnt 0x0
	v_cmp_neq_f64_e32 vcc_lo, 0, v[0:1]
	s_wait_xcnt 0x0
	v_cmp_neq_f64_e64 s6, 0, v[2:3]
	s_or_b32 s6, vcc_lo, s6
	s_delay_alu instid0(SALU_CYCLE_1)
	s_and_not1_b32 vcc_lo, exec_lo, s6
	s_cbranch_vccnz .LBB32_3
; %bb.5:                                ;   in Loop: Header=BB32_4 Depth=1
	s_and_saveexec_b32 s6, s0
	s_cbranch_execz .LBB32_9
; %bb.6:                                ;   in Loop: Header=BB32_4 Depth=1
	v_mov_b64_e32 v[4:5], 0
	v_mov_b64_e32 v[6:7], 0
	s_and_saveexec_b32 s7, s3
	s_cbranch_execz .LBB32_8
; %bb.7:                                ;   in Loop: Header=BB32_4 Depth=1
	s_mul_u64 s[10:11], s[16:17], s[28:29]
	s_delay_alu instid0(SALU_CYCLE_1)
	v_lshl_add_u64 v[4:5], s[10:11], 4, v[18:19]
	global_load_b128 v[4:7], v[4:5], off
.LBB32_8:                               ;   in Loop: Header=BB32_4 Depth=1
	s_wait_xcnt 0x0
	s_or_b32 exec_lo, exec_lo, s7
	s_wait_loadcnt 0x0
	ds_store_b128 v21, v[4:7]
.LBB32_9:                               ;   in Loop: Header=BB32_4 Depth=1
	s_or_b32 exec_lo, exec_lo, s6
	s_and_saveexec_b32 s6, s1
	s_cbranch_execz .LBB32_13
; %bb.10:                               ;   in Loop: Header=BB32_4 Depth=1
	v_mov_b64_e32 v[4:5], 0
	v_mov_b64_e32 v[6:7], 0
	s_and_saveexec_b32 s7, s4
	s_cbranch_execz .LBB32_12
; %bb.11:                               ;   in Loop: Header=BB32_4 Depth=1
	s_mul_u64 s[10:11], s[8:9], s[28:29]
	s_delay_alu instid0(SALU_CYCLE_1)
	v_lshl_add_u64 v[4:5], s[10:11], 4, v[16:17]
	global_load_b128 v[4:7], v[4:5], off
.LBB32_12:                              ;   in Loop: Header=BB32_4 Depth=1
	s_wait_xcnt 0x0
	s_or_b32 exec_lo, exec_lo, s7
	s_wait_loadcnt 0x0
	ds_store_b128 v22, v[4:7]
.LBB32_13:                              ;   in Loop: Header=BB32_4 Depth=1
	s_or_b32 exec_lo, exec_lo, s6
	s_wait_dscnt 0x0
	s_barrier_signal -1
	s_barrier_wait -1
	s_and_saveexec_b32 s6, s3
	s_cbranch_execz .LBB32_2
; %bb.14:                               ;   in Loop: Header=BB32_4 Depth=1
	ds_load_b128 v[24:27], v21
	s_wait_kmcnt 0x0
	s_mul_u64 s[10:11], s[14:15], s[28:29]
	s_wait_dscnt 0x0
	v_mul_f64_e32 v[6:7], v[2:3], v[26:27]
	v_mul_f64_e32 v[4:5], v[0:1], v[26:27]
	s_delay_alu instid0(VALU_DEP_2) | instskip(NEXT) | instid1(VALU_DEP_2)
	v_fma_f64 v[0:1], v[0:1], v[24:25], -v[6:7]
	v_fmac_f64_e32 v[4:5], v[2:3], v[24:25]
	v_lshl_add_u64 v[2:3], s[10:11], 4, v[14:15]
	s_and_saveexec_b32 s7, s2
	s_cbranch_execz .LBB32_16
; %bb.15:                               ;   in Loop: Header=BB32_4 Depth=1
	s_delay_alu instid0(VALU_DEP_1)
	v_lshl_add_u64 v[6:7], v[10:11], 4, v[2:3]
	ds_load_b128 v[28:31], v20
	global_load_b128 v[24:27], v[6:7], off
	s_wait_dscnt 0x0
	v_mul_f64_e32 v[32:33], v[4:5], v[30:31]
	v_mul_f64_e32 v[30:31], v[0:1], v[30:31]
	s_delay_alu instid0(VALU_DEP_2) | instskip(NEXT) | instid1(VALU_DEP_2)
	v_fmac_f64_e32 v[32:33], v[0:1], v[28:29]
	v_fma_f64 v[28:29], v[4:5], v[28:29], -v[30:31]
	s_wait_loadcnt 0x0
	s_delay_alu instid0(VALU_DEP_2) | instskip(NEXT) | instid1(VALU_DEP_2)
	v_add_f64_e32 v[24:25], v[24:25], v[32:33]
	v_add_f64_e32 v[26:27], v[28:29], v[26:27]
	global_store_b128 v[6:7], v[24:27], off
.LBB32_16:                              ;   in Loop: Header=BB32_4 Depth=1
	s_wait_xcnt 0x0
	s_or_b32 exec_lo, exec_lo, s7
	s_delay_alu instid0(SALU_CYCLE_1)
	s_and_b32 exec_lo, exec_lo, s5
	s_cbranch_execz .LBB32_2
; %bb.17:                               ;   in Loop: Header=BB32_4 Depth=1
	v_lshl_add_u64 v[6:7], v[12:13], 4, v[2:3]
	ds_load_b128 v[28:31], v20 offset:16
	global_load_b128 v[24:27], v[6:7], off
	s_wait_dscnt 0x0
	v_mul_f64_e32 v[2:3], v[4:5], v[30:31]
	v_mul_f64_e32 v[30:31], v[0:1], v[30:31]
	s_delay_alu instid0(VALU_DEP_2) | instskip(NEXT) | instid1(VALU_DEP_2)
	v_fmac_f64_e32 v[2:3], v[0:1], v[28:29]
	v_fma_f64 v[4:5], v[4:5], v[28:29], -v[30:31]
	s_wait_loadcnt 0x0
	s_delay_alu instid0(VALU_DEP_2) | instskip(NEXT) | instid1(VALU_DEP_2)
	v_add_f64_e32 v[0:1], v[24:25], v[2:3]
	v_add_f64_e32 v[2:3], v[4:5], v[26:27]
	global_store_b128 v[6:7], v[0:3], off
	s_branch .LBB32_2
.LBB32_18:
	s_endpgm
	.section	.rodata,"a",@progbits
	.p2align	6, 0x0
	.amdhsa_kernel _ZL18rocblas_ger_kernelILi32ELi32ELi2ELb1E19rocblas_complex_numIdEPKS1_S3_PS1_EviiT4_lT5_lllS6_lllT6_lmli
		.amdhsa_group_segment_fixed_size 1536
		.amdhsa_private_segment_fixed_size 0
		.amdhsa_kernarg_size 124
		.amdhsa_user_sgpr_count 2
		.amdhsa_user_sgpr_dispatch_ptr 0
		.amdhsa_user_sgpr_queue_ptr 0
		.amdhsa_user_sgpr_kernarg_segment_ptr 1
		.amdhsa_user_sgpr_dispatch_id 0
		.amdhsa_user_sgpr_kernarg_preload_length 0
		.amdhsa_user_sgpr_kernarg_preload_offset 0
		.amdhsa_user_sgpr_private_segment_size 0
		.amdhsa_wavefront_size32 1
		.amdhsa_uses_dynamic_stack 0
		.amdhsa_enable_private_segment 0
		.amdhsa_system_sgpr_workgroup_id_x 1
		.amdhsa_system_sgpr_workgroup_id_y 0
		.amdhsa_system_sgpr_workgroup_id_z 1
		.amdhsa_system_sgpr_workgroup_info 0
		.amdhsa_system_vgpr_workitem_id 1
		.amdhsa_next_free_vgpr 34
		.amdhsa_next_free_sgpr 38
		.amdhsa_named_barrier_count 0
		.amdhsa_reserve_vcc 1
		.amdhsa_float_round_mode_32 0
		.amdhsa_float_round_mode_16_64 0
		.amdhsa_float_denorm_mode_32 3
		.amdhsa_float_denorm_mode_16_64 3
		.amdhsa_fp16_overflow 0
		.amdhsa_memory_ordered 1
		.amdhsa_forward_progress 1
		.amdhsa_inst_pref_size 9
		.amdhsa_round_robin_scheduling 0
		.amdhsa_exception_fp_ieee_invalid_op 0
		.amdhsa_exception_fp_denorm_src 0
		.amdhsa_exception_fp_ieee_div_zero 0
		.amdhsa_exception_fp_ieee_overflow 0
		.amdhsa_exception_fp_ieee_underflow 0
		.amdhsa_exception_fp_ieee_inexact 0
		.amdhsa_exception_int_div_zero 0
	.end_amdhsa_kernel
	.section	.text._ZL18rocblas_ger_kernelILi32ELi32ELi2ELb1E19rocblas_complex_numIdEPKS1_S3_PS1_EviiT4_lT5_lllS6_lllT6_lmli,"axG",@progbits,_ZL18rocblas_ger_kernelILi32ELi32ELi2ELb1E19rocblas_complex_numIdEPKS1_S3_PS1_EviiT4_lT5_lllS6_lllT6_lmli,comdat
.Lfunc_end32:
	.size	_ZL18rocblas_ger_kernelILi32ELi32ELi2ELb1E19rocblas_complex_numIdEPKS1_S3_PS1_EviiT4_lT5_lllS6_lllT6_lmli, .Lfunc_end32-_ZL18rocblas_ger_kernelILi32ELi32ELi2ELb1E19rocblas_complex_numIdEPKS1_S3_PS1_EviiT4_lT5_lllS6_lllT6_lmli
                                        ; -- End function
	.set _ZL18rocblas_ger_kernelILi32ELi32ELi2ELb1E19rocblas_complex_numIdEPKS1_S3_PS1_EviiT4_lT5_lllS6_lllT6_lmli.num_vgpr, 34
	.set _ZL18rocblas_ger_kernelILi32ELi32ELi2ELb1E19rocblas_complex_numIdEPKS1_S3_PS1_EviiT4_lT5_lllS6_lllT6_lmli.num_agpr, 0
	.set _ZL18rocblas_ger_kernelILi32ELi32ELi2ELb1E19rocblas_complex_numIdEPKS1_S3_PS1_EviiT4_lT5_lllS6_lllT6_lmli.numbered_sgpr, 38
	.set _ZL18rocblas_ger_kernelILi32ELi32ELi2ELb1E19rocblas_complex_numIdEPKS1_S3_PS1_EviiT4_lT5_lllS6_lllT6_lmli.num_named_barrier, 0
	.set _ZL18rocblas_ger_kernelILi32ELi32ELi2ELb1E19rocblas_complex_numIdEPKS1_S3_PS1_EviiT4_lT5_lllS6_lllT6_lmli.private_seg_size, 0
	.set _ZL18rocblas_ger_kernelILi32ELi32ELi2ELb1E19rocblas_complex_numIdEPKS1_S3_PS1_EviiT4_lT5_lllS6_lllT6_lmli.uses_vcc, 1
	.set _ZL18rocblas_ger_kernelILi32ELi32ELi2ELb1E19rocblas_complex_numIdEPKS1_S3_PS1_EviiT4_lT5_lllS6_lllT6_lmli.uses_flat_scratch, 0
	.set _ZL18rocblas_ger_kernelILi32ELi32ELi2ELb1E19rocblas_complex_numIdEPKS1_S3_PS1_EviiT4_lT5_lllS6_lllT6_lmli.has_dyn_sized_stack, 0
	.set _ZL18rocblas_ger_kernelILi32ELi32ELi2ELb1E19rocblas_complex_numIdEPKS1_S3_PS1_EviiT4_lT5_lllS6_lllT6_lmli.has_recursion, 0
	.set _ZL18rocblas_ger_kernelILi32ELi32ELi2ELb1E19rocblas_complex_numIdEPKS1_S3_PS1_EviiT4_lT5_lllS6_lllT6_lmli.has_indirect_call, 0
	.section	.AMDGPU.csdata,"",@progbits
; Kernel info:
; codeLenInByte = 1052
; TotalNumSgprs: 40
; NumVgprs: 34
; ScratchSize: 0
; MemoryBound: 1
; FloatMode: 240
; IeeeMode: 1
; LDSByteSize: 1536 bytes/workgroup (compile time only)
; SGPRBlocks: 0
; VGPRBlocks: 2
; NumSGPRsForWavesPerEU: 40
; NumVGPRsForWavesPerEU: 34
; NamedBarCnt: 0
; Occupancy: 16
; WaveLimiterHint : 0
; COMPUTE_PGM_RSRC2:SCRATCH_EN: 0
; COMPUTE_PGM_RSRC2:USER_SGPR: 2
; COMPUTE_PGM_RSRC2:TRAP_HANDLER: 0
; COMPUTE_PGM_RSRC2:TGID_X_EN: 1
; COMPUTE_PGM_RSRC2:TGID_Y_EN: 0
; COMPUTE_PGM_RSRC2:TGID_Z_EN: 1
; COMPUTE_PGM_RSRC2:TIDIG_COMP_CNT: 1
	.section	.text._ZL18rocblas_ger_kernelILi32ELi32ELi2ELb1E19rocblas_complex_numIdES1_PKS1_PS1_EviiT4_lT5_lllS6_lllT6_lmli,"axG",@progbits,_ZL18rocblas_ger_kernelILi32ELi32ELi2ELb1E19rocblas_complex_numIdES1_PKS1_PS1_EviiT4_lT5_lllS6_lllT6_lmli,comdat
	.globl	_ZL18rocblas_ger_kernelILi32ELi32ELi2ELb1E19rocblas_complex_numIdES1_PKS1_PS1_EviiT4_lT5_lllS6_lllT6_lmli ; -- Begin function _ZL18rocblas_ger_kernelILi32ELi32ELi2ELb1E19rocblas_complex_numIdES1_PKS1_PS1_EviiT4_lT5_lllS6_lllT6_lmli
	.p2align	8
	.type	_ZL18rocblas_ger_kernelILi32ELi32ELi2ELb1E19rocblas_complex_numIdES1_PKS1_PS1_EviiT4_lT5_lllS6_lllT6_lmli,@function
_ZL18rocblas_ger_kernelILi32ELi32ELi2ELb1E19rocblas_complex_numIdES1_PKS1_PS1_EviiT4_lT5_lllS6_lllT6_lmli: ; @_ZL18rocblas_ger_kernelILi32ELi32ELi2ELb1E19rocblas_complex_numIdES1_PKS1_PS1_EviiT4_lT5_lllS6_lllT6_lmli
; %bb.0:
	s_load_b32 s33, s[0:1], 0x80
	s_bfe_u32 s2, ttmp6, 0x40014
	s_lshr_b32 s3, ttmp7, 16
	s_add_co_i32 s2, s2, 1
	s_bfe_u32 s5, ttmp6, 0x40008
	s_mul_i32 s4, s3, s2
	s_getreg_b32 s2, hwreg(HW_REG_IB_STS2, 6, 4)
	s_add_co_i32 s5, s5, s4
	s_cmp_eq_u32 s2, 0
	s_mov_b32 s29, 0
	s_cselect_b32 s28, s3, s5
	s_wait_kmcnt 0x0
	s_cmp_ge_u32 s28, s33
	s_cbranch_scc1 .LBB33_18
; %bb.1:
	s_clause 0x1
	s_load_b64 s[30:31], s[0:1], 0x0
	s_load_b128 s[24:27], s[0:1], 0x8
	s_bfe_u32 s6, ttmp6, 0x4000c
	s_and_b32 s5, ttmp6, 15
	s_add_co_i32 s6, s6, 1
	s_load_b256 s[16:23], s[0:1], 0x38
	s_mul_i32 s6, ttmp9, s6
	v_bfe_u32 v17, v0, 10, 10
	s_add_co_i32 s5, s5, s6
	s_load_b256 s[8:15], s[0:1], 0x58
	v_and_b32_e32 v18, 0x3ff, v0
	s_delay_alu instid0(VALU_DEP_2) | instskip(SKIP_2) | instid1(SALU_CYCLE_1)
	v_dual_mov_b32 v9, 0 :: v_dual_lshlrev_b32 v16, 5, v17
	s_wait_kmcnt 0x0
	s_add_co_i32 s3, s30, -1
	s_ashr_i32 s4, s3, 31
	s_delay_alu instid0(SALU_CYCLE_1) | instskip(NEXT) | instid1(SALU_CYCLE_1)
	s_lshr_b32 s4, s4, 27
	s_add_co_i32 s3, s3, s4
	s_delay_alu instid0(SALU_CYCLE_1) | instskip(NEXT) | instid1(SALU_CYCLE_1)
	s_ashr_i32 s3, s3, 5
	s_add_co_i32 s34, s3, 1
	s_not_b32 s3, s3
	s_cvt_f32_u32 s4, s34
	s_delay_alu instid0(SALU_CYCLE_3) | instskip(SKIP_1) | instid1(TRANS32_DEP_1)
	v_rcp_iflag_f32_e32 v1, s4
	v_nop
	v_readfirstlane_b32 s4, v1
	v_lshlrev_b32_e32 v1, 1, v17
	s_mul_f32 s4, s4, 0x4f7ffffe
	s_delay_alu instid0(SALU_CYCLE_3) | instskip(NEXT) | instid1(SALU_CYCLE_3)
	s_cvt_u32_f32 s4, s4
	s_mul_i32 s3, s3, s4
	s_delay_alu instid0(SALU_CYCLE_1) | instskip(NEXT) | instid1(SALU_CYCLE_1)
	s_mul_hi_u32 s3, s4, s3
	s_add_co_i32 s4, s4, s3
	s_cmp_eq_u32 s2, 0
	s_cselect_b32 s2, ttmp9, s5
	s_delay_alu instid0(SALU_CYCLE_1) | instskip(SKIP_4) | instid1(SALU_CYCLE_1)
	s_mul_hi_u32 s3, s2, s4
	s_load_b128 s[4:7], s[0:1], 0x28
	s_mul_i32 s35, s3, s34
	s_add_co_i32 s36, s3, 1
	s_sub_co_i32 s35, s2, s35
	s_sub_co_i32 s37, s35, s34
	s_cmp_ge_u32 s35, s34
	s_cselect_b32 s3, s36, s3
	s_cselect_b32 s35, s37, s35
	s_add_co_i32 s36, s3, 1
	s_cmp_ge_u32 s35, s34
	v_cmp_neq_f64_e64 s35, s[26:27], 0
	s_cselect_b32 s3, s36, s3
	s_lshl_b64 s[12:13], s[12:13], 4
	s_mul_i32 s34, s3, s34
	v_lshl_add_u32 v0, s3, 6, v1
	s_sub_co_i32 s2, s2, s34
	v_cmp_neq_f64_e64 s34, s[24:25], 0
	v_lshl_add_u32 v2, s2, 5, v18
	s_load_b64 s[2:3], s[0:1], 0x20
	v_dual_ashrrev_i32 v1, 31, v0 :: v_dual_bitop2_b32 v8, v0, v18 bitop3:0x54
	s_delay_alu instid0(VALU_DEP_2) | instskip(SKIP_2) | instid1(VALU_DEP_2)
	v_dual_ashrrev_i32 v3, 31, v2 :: v_dual_bitop2_b32 v10, 1, v0 bitop3:0x54
	s_wait_kmcnt 0x0
	s_lshl_b64 s[4:5], s[4:5], 4
	v_mul_u64_e32 v[12:13], s[22:23], v[8:9]
	v_mul_u64_e32 v[4:5], s[14:15], v[0:1]
	v_ashrrev_i32_e32 v11, 31, v10
	v_mul_u64_e32 v[14:15], s[6:7], v[2:3]
	s_load_b64 s[6:7], s[0:1], 0x78
	v_lshlrev_b32_e32 v1, 4, v18
	s_add_nc_u64 s[10:11], s[10:11], s[12:13]
	s_wait_xcnt 0x0
	v_cmp_eq_u32_e64 s0, 0, v17
	v_mul_u64_e32 v[6:7], s[14:15], v[10:11]
	s_lshl_b64 s[14:15], s[20:21], 4
	v_cmp_gt_u32_e64 s1, 2, v18
	s_add_nc_u64 s[12:13], s[18:19], s[14:15]
	v_add_nc_u32_e32 v17, 0x400, v1
	v_add_nc_u32_e32 v18, v16, v1
	s_add_nc_u64 s[14:15], s[2:3], s[4:5]
	v_cmp_gt_i32_e64 s2, s31, v0
	v_cmp_gt_i32_e64 s3, s30, v2
	v_cmp_gt_u32_e64 s4, s31, v8
	v_cmp_gt_i32_e64 s5, s31, v10
	v_lshl_add_u64 v[8:9], v[2:3], 4, s[10:11]
	s_or_b32 s10, s34, s35
	v_lshl_add_u64 v[10:11], v[12:13], 4, s[12:13]
	v_lshl_add_u64 v[12:13], v[14:15], 4, s[14:15]
	s_branch .LBB33_4
.LBB33_2:                               ;   in Loop: Header=BB33_4 Depth=1
	s_wait_xcnt 0x0
	s_or_b32 exec_lo, exec_lo, s11
.LBB33_3:                               ;   in Loop: Header=BB33_4 Depth=1
	s_add_co_i32 s28, s28, 0x10000
	s_delay_alu instid0(SALU_CYCLE_1)
	s_cmp_lt_u32 s28, s33
	s_cbranch_scc0 .LBB33_18
.LBB33_4:                               ; =>This Inner Loop Header: Depth=1
	s_and_not1_b32 vcc_lo, exec_lo, s10
	s_cbranch_vccnz .LBB33_3
; %bb.5:                                ;   in Loop: Header=BB33_4 Depth=1
	s_and_saveexec_b32 s11, s0
	s_cbranch_execz .LBB33_9
; %bb.6:                                ;   in Loop: Header=BB33_4 Depth=1
	v_mov_b64_e32 v[0:1], 0
	v_mov_b64_e32 v[2:3], 0
	s_and_saveexec_b32 s12, s3
	s_cbranch_execz .LBB33_8
; %bb.7:                                ;   in Loop: Header=BB33_4 Depth=1
	s_mul_u64 s[14:15], s[16:17], s[28:29]
	s_delay_alu instid0(SALU_CYCLE_1)
	v_lshl_add_u64 v[0:1], s[14:15], 4, v[12:13]
	global_load_b128 v[0:3], v[0:1], off
.LBB33_8:                               ;   in Loop: Header=BB33_4 Depth=1
	s_wait_xcnt 0x0
	s_or_b32 exec_lo, exec_lo, s12
	s_wait_loadcnt 0x0
	ds_store_b128 v17, v[0:3]
.LBB33_9:                               ;   in Loop: Header=BB33_4 Depth=1
	s_or_b32 exec_lo, exec_lo, s11
	s_and_saveexec_b32 s11, s1
	s_cbranch_execz .LBB33_13
; %bb.10:                               ;   in Loop: Header=BB33_4 Depth=1
	v_mov_b64_e32 v[0:1], 0
	v_mov_b64_e32 v[2:3], 0
	s_and_saveexec_b32 s12, s4
	s_cbranch_execz .LBB33_12
; %bb.11:                               ;   in Loop: Header=BB33_4 Depth=1
	s_mul_u64 s[14:15], s[8:9], s[28:29]
	s_delay_alu instid0(SALU_CYCLE_1)
	v_lshl_add_u64 v[0:1], s[14:15], 4, v[10:11]
	global_load_b128 v[0:3], v[0:1], off
.LBB33_12:                              ;   in Loop: Header=BB33_4 Depth=1
	s_wait_xcnt 0x0
	s_or_b32 exec_lo, exec_lo, s12
	s_wait_loadcnt 0x0
	ds_store_b128 v18, v[0:3]
.LBB33_13:                              ;   in Loop: Header=BB33_4 Depth=1
	s_or_b32 exec_lo, exec_lo, s11
	s_wait_dscnt 0x0
	s_barrier_signal -1
	s_barrier_wait -1
	s_and_saveexec_b32 s11, s3
	s_cbranch_execz .LBB33_2
; %bb.14:                               ;   in Loop: Header=BB33_4 Depth=1
	ds_load_b128 v[20:23], v17
	s_wait_kmcnt 0x0
	s_mul_u64 s[12:13], s[6:7], s[28:29]
	s_delay_alu instid0(SALU_CYCLE_1) | instskip(SKIP_3) | instid1(VALU_DEP_2)
	v_lshl_add_u64 v[14:15], s[12:13], 4, v[8:9]
	s_wait_dscnt 0x0
	v_mul_f64_e32 v[2:3], s[26:27], v[22:23]
	v_mul_f64_e32 v[0:1], s[24:25], v[22:23]
	v_fma_f64 v[2:3], s[24:25], v[20:21], -v[2:3]
	s_delay_alu instid0(VALU_DEP_2)
	v_fmac_f64_e32 v[0:1], s[26:27], v[20:21]
	s_and_saveexec_b32 s12, s2
	s_cbranch_execz .LBB33_16
; %bb.15:                               ;   in Loop: Header=BB33_4 Depth=1
	v_lshl_add_u64 v[28:29], v[4:5], 4, v[14:15]
	ds_load_b128 v[24:27], v16
	global_load_b128 v[20:23], v[28:29], off
	s_wait_dscnt 0x0
	v_mul_f64_e32 v[30:31], v[0:1], v[26:27]
	v_mul_f64_e32 v[26:27], v[2:3], v[26:27]
	s_delay_alu instid0(VALU_DEP_2) | instskip(NEXT) | instid1(VALU_DEP_2)
	v_fmac_f64_e32 v[30:31], v[2:3], v[24:25]
	v_fma_f64 v[24:25], v[0:1], v[24:25], -v[26:27]
	s_wait_loadcnt 0x0
	s_delay_alu instid0(VALU_DEP_2) | instskip(NEXT) | instid1(VALU_DEP_2)
	v_add_f64_e32 v[20:21], v[20:21], v[30:31]
	v_add_f64_e32 v[22:23], v[24:25], v[22:23]
	global_store_b128 v[28:29], v[20:23], off
.LBB33_16:                              ;   in Loop: Header=BB33_4 Depth=1
	s_wait_xcnt 0x0
	s_or_b32 exec_lo, exec_lo, s12
	s_delay_alu instid0(SALU_CYCLE_1)
	s_and_b32 exec_lo, exec_lo, s5
	s_cbranch_execz .LBB33_2
; %bb.17:                               ;   in Loop: Header=BB33_4 Depth=1
	v_lshl_add_u64 v[14:15], v[6:7], 4, v[14:15]
	ds_load_b128 v[24:27], v16 offset:16
	global_load_b128 v[20:23], v[14:15], off
	s_wait_dscnt 0x0
	v_mul_f64_e32 v[28:29], v[0:1], v[26:27]
	v_mul_f64_e32 v[26:27], v[2:3], v[26:27]
	s_delay_alu instid0(VALU_DEP_2) | instskip(NEXT) | instid1(VALU_DEP_2)
	v_fmac_f64_e32 v[28:29], v[2:3], v[24:25]
	v_fma_f64 v[2:3], v[0:1], v[24:25], -v[26:27]
	s_wait_loadcnt 0x0
	s_delay_alu instid0(VALU_DEP_2) | instskip(NEXT) | instid1(VALU_DEP_2)
	v_add_f64_e32 v[0:1], v[20:21], v[28:29]
	v_add_f64_e32 v[2:3], v[2:3], v[22:23]
	global_store_b128 v[14:15], v[0:3], off
	s_branch .LBB33_2
.LBB33_18:
	s_endpgm
	.section	.rodata,"a",@progbits
	.p2align	6, 0x0
	.amdhsa_kernel _ZL18rocblas_ger_kernelILi32ELi32ELi2ELb1E19rocblas_complex_numIdES1_PKS1_PS1_EviiT4_lT5_lllS6_lllT6_lmli
		.amdhsa_group_segment_fixed_size 1536
		.amdhsa_private_segment_fixed_size 0
		.amdhsa_kernarg_size 132
		.amdhsa_user_sgpr_count 2
		.amdhsa_user_sgpr_dispatch_ptr 0
		.amdhsa_user_sgpr_queue_ptr 0
		.amdhsa_user_sgpr_kernarg_segment_ptr 1
		.amdhsa_user_sgpr_dispatch_id 0
		.amdhsa_user_sgpr_kernarg_preload_length 0
		.amdhsa_user_sgpr_kernarg_preload_offset 0
		.amdhsa_user_sgpr_private_segment_size 0
		.amdhsa_wavefront_size32 1
		.amdhsa_uses_dynamic_stack 0
		.amdhsa_enable_private_segment 0
		.amdhsa_system_sgpr_workgroup_id_x 1
		.amdhsa_system_sgpr_workgroup_id_y 0
		.amdhsa_system_sgpr_workgroup_id_z 1
		.amdhsa_system_sgpr_workgroup_info 0
		.amdhsa_system_vgpr_workitem_id 1
		.amdhsa_next_free_vgpr 32
		.amdhsa_next_free_sgpr 38
		.amdhsa_named_barrier_count 0
		.amdhsa_reserve_vcc 1
		.amdhsa_float_round_mode_32 0
		.amdhsa_float_round_mode_16_64 0
		.amdhsa_float_denorm_mode_32 3
		.amdhsa_float_denorm_mode_16_64 3
		.amdhsa_fp16_overflow 0
		.amdhsa_memory_ordered 1
		.amdhsa_forward_progress 1
		.amdhsa_inst_pref_size 8
		.amdhsa_round_robin_scheduling 0
		.amdhsa_exception_fp_ieee_invalid_op 0
		.amdhsa_exception_fp_denorm_src 0
		.amdhsa_exception_fp_ieee_div_zero 0
		.amdhsa_exception_fp_ieee_overflow 0
		.amdhsa_exception_fp_ieee_underflow 0
		.amdhsa_exception_fp_ieee_inexact 0
		.amdhsa_exception_int_div_zero 0
	.end_amdhsa_kernel
	.section	.text._ZL18rocblas_ger_kernelILi32ELi32ELi2ELb1E19rocblas_complex_numIdES1_PKS1_PS1_EviiT4_lT5_lllS6_lllT6_lmli,"axG",@progbits,_ZL18rocblas_ger_kernelILi32ELi32ELi2ELb1E19rocblas_complex_numIdES1_PKS1_PS1_EviiT4_lT5_lllS6_lllT6_lmli,comdat
.Lfunc_end33:
	.size	_ZL18rocblas_ger_kernelILi32ELi32ELi2ELb1E19rocblas_complex_numIdES1_PKS1_PS1_EviiT4_lT5_lllS6_lllT6_lmli, .Lfunc_end33-_ZL18rocblas_ger_kernelILi32ELi32ELi2ELb1E19rocblas_complex_numIdES1_PKS1_PS1_EviiT4_lT5_lllS6_lllT6_lmli
                                        ; -- End function
	.set _ZL18rocblas_ger_kernelILi32ELi32ELi2ELb1E19rocblas_complex_numIdES1_PKS1_PS1_EviiT4_lT5_lllS6_lllT6_lmli.num_vgpr, 32
	.set _ZL18rocblas_ger_kernelILi32ELi32ELi2ELb1E19rocblas_complex_numIdES1_PKS1_PS1_EviiT4_lT5_lllS6_lllT6_lmli.num_agpr, 0
	.set _ZL18rocblas_ger_kernelILi32ELi32ELi2ELb1E19rocblas_complex_numIdES1_PKS1_PS1_EviiT4_lT5_lllS6_lllT6_lmli.numbered_sgpr, 38
	.set _ZL18rocblas_ger_kernelILi32ELi32ELi2ELb1E19rocblas_complex_numIdES1_PKS1_PS1_EviiT4_lT5_lllS6_lllT6_lmli.num_named_barrier, 0
	.set _ZL18rocblas_ger_kernelILi32ELi32ELi2ELb1E19rocblas_complex_numIdES1_PKS1_PS1_EviiT4_lT5_lllS6_lllT6_lmli.private_seg_size, 0
	.set _ZL18rocblas_ger_kernelILi32ELi32ELi2ELb1E19rocblas_complex_numIdES1_PKS1_PS1_EviiT4_lT5_lllS6_lllT6_lmli.uses_vcc, 1
	.set _ZL18rocblas_ger_kernelILi32ELi32ELi2ELb1E19rocblas_complex_numIdES1_PKS1_PS1_EviiT4_lT5_lllS6_lllT6_lmli.uses_flat_scratch, 0
	.set _ZL18rocblas_ger_kernelILi32ELi32ELi2ELb1E19rocblas_complex_numIdES1_PKS1_PS1_EviiT4_lT5_lllS6_lllT6_lmli.has_dyn_sized_stack, 0
	.set _ZL18rocblas_ger_kernelILi32ELi32ELi2ELb1E19rocblas_complex_numIdES1_PKS1_PS1_EviiT4_lT5_lllS6_lllT6_lmli.has_recursion, 0
	.set _ZL18rocblas_ger_kernelILi32ELi32ELi2ELb1E19rocblas_complex_numIdES1_PKS1_PS1_EviiT4_lT5_lllS6_lllT6_lmli.has_indirect_call, 0
	.section	.AMDGPU.csdata,"",@progbits
; Kernel info:
; codeLenInByte = 1016
; TotalNumSgprs: 40
; NumVgprs: 32
; ScratchSize: 0
; MemoryBound: 1
; FloatMode: 240
; IeeeMode: 1
; LDSByteSize: 1536 bytes/workgroup (compile time only)
; SGPRBlocks: 0
; VGPRBlocks: 1
; NumSGPRsForWavesPerEU: 40
; NumVGPRsForWavesPerEU: 32
; NamedBarCnt: 0
; Occupancy: 16
; WaveLimiterHint : 1
; COMPUTE_PGM_RSRC2:SCRATCH_EN: 0
; COMPUTE_PGM_RSRC2:USER_SGPR: 2
; COMPUTE_PGM_RSRC2:TRAP_HANDLER: 0
; COMPUTE_PGM_RSRC2:TGID_X_EN: 1
; COMPUTE_PGM_RSRC2:TGID_Y_EN: 0
; COMPUTE_PGM_RSRC2:TGID_Z_EN: 1
; COMPUTE_PGM_RSRC2:TIDIG_COMP_CNT: 1
	.section	.text._ZL34rocblas_ger_double_buffered_kernelILb0ELi128ELi8ELi8Ef24rocblas_internal_val_ptrIfEPKPKfPKPfEvbiiT4_lT5_lllSA_lllT6_lmli,"axG",@progbits,_ZL34rocblas_ger_double_buffered_kernelILb0ELi128ELi8ELi8Ef24rocblas_internal_val_ptrIfEPKPKfPKPfEvbiiT4_lT5_lllSA_lllT6_lmli,comdat
	.globl	_ZL34rocblas_ger_double_buffered_kernelILb0ELi128ELi8ELi8Ef24rocblas_internal_val_ptrIfEPKPKfPKPfEvbiiT4_lT5_lllSA_lllT6_lmli ; -- Begin function _ZL34rocblas_ger_double_buffered_kernelILb0ELi128ELi8ELi8Ef24rocblas_internal_val_ptrIfEPKPKfPKPfEvbiiT4_lT5_lllSA_lllT6_lmli
	.p2align	8
	.type	_ZL34rocblas_ger_double_buffered_kernelILb0ELi128ELi8ELi8Ef24rocblas_internal_val_ptrIfEPKPKfPKPfEvbiiT4_lT5_lllSA_lllT6_lmli,@function
_ZL34rocblas_ger_double_buffered_kernelILb0ELi128ELi8ELi8Ef24rocblas_internal_val_ptrIfEPKPKfPKPfEvbiiT4_lT5_lllSA_lllT6_lmli: ; @_ZL34rocblas_ger_double_buffered_kernelILb0ELi128ELi8ELi8Ef24rocblas_internal_val_ptrIfEPKPKfPKPfEvbiiT4_lT5_lllSA_lllT6_lmli
; %bb.0:
	s_load_b32 s33, s[0:1], 0x80
	s_bfe_u32 s2, ttmp6, 0x40014
	s_lshr_b32 s3, ttmp7, 16
	s_add_co_i32 s2, s2, 1
	s_bfe_u32 s4, ttmp6, 0x40008
	s_mul_i32 s2, s3, s2
	s_getreg_b32 s24, hwreg(HW_REG_IB_STS2, 6, 4)
	s_add_co_i32 s4, s4, s2
	s_cmp_eq_u32 s24, 0
	s_cselect_b32 s2, s3, s4
	s_mov_b32 s3, 0
	s_wait_kmcnt 0x0
	s_cmp_ge_u32 s2, s33
	s_cbranch_scc1 .LBB34_7
; %bb.1:
	s_clause 0x1
	s_load_b32 s25, s[0:1], 0x0
	s_load_b128 s[4:7], s[0:1], 0x10
	v_lshrrev_b32_e32 v1, 3, v0
	v_and_b32_e32 v2, 0x3ff, v0
	s_clause 0x4
	s_load_b64 s[20:21], s[0:1], 0x20
	s_load_b128 s[12:15], s[0:1], 0x28
	s_load_b64 s[22:23], s[0:1], 0x60
	s_load_b128 s[8:11], s[0:1], 0x68
	s_load_b128 s[16:19], s[0:1], 0x48
	v_and_b32_e32 v1, 0x1ff80, v1
	s_delay_alu instid0(VALU_DEP_1) | instskip(NEXT) | instid1(VALU_DEP_1)
	v_dual_mov_b32 v1, 0 :: v_dual_add_nc_u32 v2, v1, v2
	v_dual_lshrrev_b32 v22, 3, v2 :: v_dual_bitop2_b32 v24, 63, v0 bitop3:0x40
	s_delay_alu instid0(VALU_DEP_1)
	v_dual_mov_b32 v25, v1 :: v_dual_bitop2_b32 v6, 64, v24 bitop3:0x54
	v_mov_b32_e32 v7, v1
	s_wait_kmcnt 0x0
	s_bitcmp1_b32 s25, 0
	v_and_b32_e32 v0, 0x7ff8, v22
	s_cselect_b32 s25, -1, 0
	s_bfe_u32 s27, ttmp6, 0x4000c
	s_bfe_u32 s29, ttmp6, 0x40010
	s_and_b32 s28, ttmp7, 0xffff
	s_add_co_i32 s27, s27, 1
	s_add_co_i32 s29, s29, 1
	s_and_b32 s26, ttmp6, 15
	s_xor_b32 s30, s25, -1
	s_mul_i32 s25, ttmp9, s27
	s_mul_i32 s27, s28, s29
	s_bfe_u32 s29, ttmp6, 0x40004
	s_add_co_i32 s26, s26, s25
	s_add_co_i32 s29, s29, s27
	v_dual_mov_b32 v11, v1 :: v_dual_bitop2_b32 v10, 1, v0 bitop3:0x54
	v_mul_u64_e32 v[2:3], s[10:11], v[0:1]
	v_dual_mov_b32 v15, v1 :: v_dual_bitop2_b32 v14, 2, v0 bitop3:0x54
	v_dual_mov_b32 v17, v1 :: v_dual_bitop2_b32 v16, 3, v0 bitop3:0x54
	v_dual_mov_b32 v19, v1 :: v_dual_bitop2_b32 v18, 4, v0 bitop3:0x54
	v_dual_mov_b32 v21, v1 :: v_dual_bitop2_b32 v20, 5, v0 bitop3:0x54
	s_cmp_eq_u32 s24, 0
	s_load_b64 s[24:25], s[0:1], 0x40
	v_mul_u64_e32 v[8:9], s[18:19], v[0:1]
	v_or_b32_e32 v0, 6, v0
	v_mul_u64_e32 v[4:5], s[14:15], v[24:25]
	v_mul_u64_e32 v[6:7], s[14:15], v[6:7]
	;; [unrolled: 1-line block ×5, first 2 shown]
	v_or_b32_e32 v0, 7, v22
	v_mul_u64_e32 v[16:17], s[18:19], v[16:17]
	v_mul_u64_e32 v[18:19], s[18:19], v[18:19]
	;; [unrolled: 1-line block ×3, first 2 shown]
	s_wait_xcnt 0x0
	s_cselect_b32 s0, ttmp9, s26
	v_mul_u64_e32 v[22:23], s[18:19], v[0:1]
	v_cndmask_b32_e64 v0, 0, 1, s30
	s_cselect_b32 s1, s28, s29
	s_lshl_b32 s36, s0, 7
	s_lshl_b32 s0, s1, 7
	s_mov_b32 s1, s3
	s_ashr_i32 s37, s36, 31
	s_mul_u64 s[38:39], s[10:11], s[0:1]
	s_mul_u64 s[42:43], s[18:19], s[0:1]
	v_cmp_ne_u32_e64 s0, 1, v0
	v_lshlrev_b32_e32 v0, 2, v24
	s_mul_u64 s[40:41], s[14:15], s[36:37]
	s_lshl_b64 s[14:15], s[10:11], 1
	s_mul_u64 s[18:19], s[10:11], 3
	s_lshl_b64 s[26:27], s[10:11], 2
	s_mul_u64 s[28:29], s[10:11], 5
	s_mul_u64 s[30:31], s[10:11], 6
	;; [unrolled: 1-line block ×3, first 2 shown]
	s_lshl_b64 s[8:9], s[8:9], 2
	s_lshl_b64 s[12:13], s[12:13], 2
	;; [unrolled: 1-line block ×7, first 2 shown]
	s_branch .LBB34_3
.LBB34_2:                               ;   in Loop: Header=BB34_3 Depth=1
	s_add_co_i32 s2, s2, 0x10000
	s_delay_alu instid0(SALU_CYCLE_1)
	s_cmp_lt_u32 s2, s33
	s_cbranch_scc0 .LBB34_7
.LBB34_3:                               ; =>This Inner Loop Header: Depth=1
	v_mov_b32_e32 v34, s4
	s_and_b32 vcc_lo, exec_lo, s0
	s_cbranch_vccnz .LBB34_5
; %bb.4:                                ;   in Loop: Header=BB34_3 Depth=1
	s_wait_xcnt 0x0
	s_mul_u64 s[44:45], s[6:7], s[2:3]
	s_delay_alu instid0(SALU_CYCLE_1) | instskip(NEXT) | instid1(SALU_CYCLE_1)
	s_lshl_b64 s[44:45], s[44:45], 2
	s_add_nc_u64 s[44:45], s[4:5], s[44:45]
	global_load_b32 v34, v1, s[44:45]
.LBB34_5:                               ;   in Loop: Header=BB34_3 Depth=1
	s_wait_loadcnt 0x0
	s_delay_alu instid0(VALU_DEP_1)
	v_cmp_eq_f32_e32 vcc_lo, 0, v34
	s_cbranch_vccnz .LBB34_2
; %bb.6:                                ;   in Loop: Header=BB34_3 Depth=1
	s_wait_xcnt 0x0
	s_load_b64 s[44:45], s[20:21], s2 offset:0x0 scale_offset
	s_load_b64 s[46:47], s[22:23], s2 offset:0x0 scale_offset
	s_wait_kmcnt 0x0
	s_load_b64 s[48:49], s[24:25], s2 offset:0x0 scale_offset
	s_add_nc_u64 s[44:45], s[44:45], s[12:13]
	s_add_nc_u64 s[46:47], s[46:47], s[8:9]
	s_wait_kmcnt 0x0
	s_add_nc_u64 s[48:49], s[48:49], s[16:17]
	s_add_nc_u64 s[46:47], s[46:47], s[36:37]
	;; [unrolled: 1-line block ×5, first 2 shown]
	v_lshl_add_u64 v[26:27], v[4:5], 2, s[44:45]
	v_lshl_add_u64 v[28:29], v[6:7], 2, s[44:45]
	v_lshl_add_u64 v[24:25], v[2:3], 2, s[46:47]
	v_lshl_add_u64 v[30:31], v[8:9], 2, s[48:49]
	s_clause 0x1
	flat_load_b32 v35, v[26:27]
	flat_load_b32 v44, v[28:29]
	;; [unrolled: 1-line block ×3, first 2 shown]
	v_add_nc_u64_e32 v[24:25], v[24:25], v[0:1]
	v_lshl_add_u64 v[36:37], v[10:11], 2, s[48:49]
	v_lshl_add_u64 v[38:39], v[14:15], 2, s[48:49]
	;; [unrolled: 1-line block ×4, first 2 shown]
	s_wait_xcnt 0x2
	v_lshl_add_u64 v[26:27], s[10:11], 2, v[24:25]
	s_wait_xcnt 0x1
	v_lshl_add_u64 v[28:29], s[14:15], 2, v[24:25]
	;; [unrolled: 2-line block ×3, first 2 shown]
	v_lshl_add_u64 v[32:33], s[26:27], 2, v[24:25]
	s_clause 0x4
	flat_load_b32 v46, v[24:25]
	flat_load_b32 v47, v[24:25] offset:256
	flat_load_b32 v48, v[26:27]
	flat_load_b32 v49, v[28:29]
	;; [unrolled: 1-line block ×3, first 2 shown]
	s_clause 0x3
	flat_load_b32 v51, v[36:37]
	flat_load_b32 v52, v[38:39]
	;; [unrolled: 1-line block ×5, first 2 shown]
	s_wait_xcnt 0x4
	v_lshl_add_u64 v[36:37], v[20:21], 2, s[48:49]
	s_wait_xcnt 0x3
	v_lshl_add_u64 v[38:39], v[12:13], 2, s[48:49]
	;; [unrolled: 2-line block ×3, first 2 shown]
	s_clause 0x2
	flat_load_b32 v42, v[36:37]
	flat_load_b32 v43, v[38:39]
	;; [unrolled: 1-line block ×3, first 2 shown]
	s_wait_xcnt 0x2
	v_lshl_add_u64 v[36:37], s[28:29], 2, v[24:25]
	s_wait_xcnt 0x1
	v_lshl_add_u64 v[38:39], s[30:31], 2, v[24:25]
	;; [unrolled: 2-line block ×3, first 2 shown]
	s_wait_loadcnt_dscnt 0xe0e
	v_dual_mul_f32 v35, v34, v35 :: v_dual_mul_f32 v34, v34, v44
	s_clause 0x2
	flat_load_b32 v44, v[30:31] offset:256
	flat_load_b32 v57, v[28:29] offset:256
	;; [unrolled: 1-line block ×3, first 2 shown]
	s_wait_loadcnt_dscnt 0xe0e
	v_dual_fmac_f32 v46, v35, v45 :: v_dual_fmac_f32 v47, v34, v45
	s_clause 0x6
	flat_load_b32 v45, v[40:41] offset:256
	flat_load_b32 v59, v[38:39] offset:256
	;; [unrolled: 1-line block ×4, first 2 shown]
	flat_load_b32 v62, v[36:37]
	flat_load_b32 v63, v[38:39]
	;; [unrolled: 1-line block ×3, first 2 shown]
	s_wait_loadcnt_dscnt 0x1010
	v_dual_fmac_f32 v48, v35, v51 :: v_dual_fmac_f32 v49, v35, v52
	s_wait_loadcnt_dscnt 0xd0d
	v_dual_fmac_f32 v50, v35, v53 :: v_dual_fmac_f32 v55, v35, v54
	;; [unrolled: 2-line block ×5, first 2 shown]
	s_wait_loadcnt_dscnt 0x303
	v_fmac_f32_e32 v61, v34, v54
	s_wait_loadcnt_dscnt 0x101
	v_dual_fmac_f32 v62, v35, v42 :: v_dual_fmac_f32 v63, v35, v43
	s_wait_loadcnt_dscnt 0x0
	v_fmac_f32_e32 v64, v35, v56
	s_clause 0xf
	flat_store_b32 v[24:25], v46
	flat_store_b32 v[26:27], v48
	;; [unrolled: 1-line block ×8, first 2 shown]
	flat_store_b32 v[24:25], v47 offset:256
	flat_store_b32 v[26:27], v58 offset:256
	;; [unrolled: 1-line block ×8, first 2 shown]
	s_branch .LBB34_2
.LBB34_7:
	s_sendmsg sendmsg(MSG_DEALLOC_VGPRS)
	s_endpgm
	.section	.rodata,"a",@progbits
	.p2align	6, 0x0
	.amdhsa_kernel _ZL34rocblas_ger_double_buffered_kernelILb0ELi128ELi8ELi8Ef24rocblas_internal_val_ptrIfEPKPKfPKPfEvbiiT4_lT5_lllSA_lllT6_lmli
		.amdhsa_group_segment_fixed_size 0
		.amdhsa_private_segment_fixed_size 0
		.amdhsa_kernarg_size 132
		.amdhsa_user_sgpr_count 2
		.amdhsa_user_sgpr_dispatch_ptr 0
		.amdhsa_user_sgpr_queue_ptr 0
		.amdhsa_user_sgpr_kernarg_segment_ptr 1
		.amdhsa_user_sgpr_dispatch_id 0
		.amdhsa_user_sgpr_kernarg_preload_length 0
		.amdhsa_user_sgpr_kernarg_preload_offset 0
		.amdhsa_user_sgpr_private_segment_size 0
		.amdhsa_wavefront_size32 1
		.amdhsa_uses_dynamic_stack 0
		.amdhsa_enable_private_segment 0
		.amdhsa_system_sgpr_workgroup_id_x 1
		.amdhsa_system_sgpr_workgroup_id_y 1
		.amdhsa_system_sgpr_workgroup_id_z 1
		.amdhsa_system_sgpr_workgroup_info 0
		.amdhsa_system_vgpr_workitem_id 1
		.amdhsa_next_free_vgpr 65
		.amdhsa_next_free_sgpr 50
		.amdhsa_named_barrier_count 0
		.amdhsa_reserve_vcc 1
		.amdhsa_float_round_mode_32 0
		.amdhsa_float_round_mode_16_64 0
		.amdhsa_float_denorm_mode_32 3
		.amdhsa_float_denorm_mode_16_64 3
		.amdhsa_fp16_overflow 0
		.amdhsa_memory_ordered 1
		.amdhsa_forward_progress 1
		.amdhsa_inst_pref_size 12
		.amdhsa_round_robin_scheduling 0
		.amdhsa_exception_fp_ieee_invalid_op 0
		.amdhsa_exception_fp_denorm_src 0
		.amdhsa_exception_fp_ieee_div_zero 0
		.amdhsa_exception_fp_ieee_overflow 0
		.amdhsa_exception_fp_ieee_underflow 0
		.amdhsa_exception_fp_ieee_inexact 0
		.amdhsa_exception_int_div_zero 0
	.end_amdhsa_kernel
	.section	.text._ZL34rocblas_ger_double_buffered_kernelILb0ELi128ELi8ELi8Ef24rocblas_internal_val_ptrIfEPKPKfPKPfEvbiiT4_lT5_lllSA_lllT6_lmli,"axG",@progbits,_ZL34rocblas_ger_double_buffered_kernelILb0ELi128ELi8ELi8Ef24rocblas_internal_val_ptrIfEPKPKfPKPfEvbiiT4_lT5_lllSA_lllT6_lmli,comdat
.Lfunc_end34:
	.size	_ZL34rocblas_ger_double_buffered_kernelILb0ELi128ELi8ELi8Ef24rocblas_internal_val_ptrIfEPKPKfPKPfEvbiiT4_lT5_lllSA_lllT6_lmli, .Lfunc_end34-_ZL34rocblas_ger_double_buffered_kernelILb0ELi128ELi8ELi8Ef24rocblas_internal_val_ptrIfEPKPKfPKPfEvbiiT4_lT5_lllSA_lllT6_lmli
                                        ; -- End function
	.set _ZL34rocblas_ger_double_buffered_kernelILb0ELi128ELi8ELi8Ef24rocblas_internal_val_ptrIfEPKPKfPKPfEvbiiT4_lT5_lllSA_lllT6_lmli.num_vgpr, 65
	.set _ZL34rocblas_ger_double_buffered_kernelILb0ELi128ELi8ELi8Ef24rocblas_internal_val_ptrIfEPKPKfPKPfEvbiiT4_lT5_lllSA_lllT6_lmli.num_agpr, 0
	.set _ZL34rocblas_ger_double_buffered_kernelILb0ELi128ELi8ELi8Ef24rocblas_internal_val_ptrIfEPKPKfPKPfEvbiiT4_lT5_lllSA_lllT6_lmli.numbered_sgpr, 50
	.set _ZL34rocblas_ger_double_buffered_kernelILb0ELi128ELi8ELi8Ef24rocblas_internal_val_ptrIfEPKPKfPKPfEvbiiT4_lT5_lllSA_lllT6_lmli.num_named_barrier, 0
	.set _ZL34rocblas_ger_double_buffered_kernelILb0ELi128ELi8ELi8Ef24rocblas_internal_val_ptrIfEPKPKfPKPfEvbiiT4_lT5_lllSA_lllT6_lmli.private_seg_size, 0
	.set _ZL34rocblas_ger_double_buffered_kernelILb0ELi128ELi8ELi8Ef24rocblas_internal_val_ptrIfEPKPKfPKPfEvbiiT4_lT5_lllSA_lllT6_lmli.uses_vcc, 1
	.set _ZL34rocblas_ger_double_buffered_kernelILb0ELi128ELi8ELi8Ef24rocblas_internal_val_ptrIfEPKPKfPKPfEvbiiT4_lT5_lllSA_lllT6_lmli.uses_flat_scratch, 1
	.set _ZL34rocblas_ger_double_buffered_kernelILb0ELi128ELi8ELi8Ef24rocblas_internal_val_ptrIfEPKPKfPKPfEvbiiT4_lT5_lllSA_lllT6_lmli.has_dyn_sized_stack, 0
	.set _ZL34rocblas_ger_double_buffered_kernelILb0ELi128ELi8ELi8Ef24rocblas_internal_val_ptrIfEPKPKfPKPfEvbiiT4_lT5_lllSA_lllT6_lmli.has_recursion, 0
	.set _ZL34rocblas_ger_double_buffered_kernelILb0ELi128ELi8ELi8Ef24rocblas_internal_val_ptrIfEPKPKfPKPfEvbiiT4_lT5_lllSA_lllT6_lmli.has_indirect_call, 0
	.section	.AMDGPU.csdata,"",@progbits
; Kernel info:
; codeLenInByte = 1504
; TotalNumSgprs: 52
; NumVgprs: 65
; ScratchSize: 0
; MemoryBound: 0
; FloatMode: 240
; IeeeMode: 1
; LDSByteSize: 0 bytes/workgroup (compile time only)
; SGPRBlocks: 0
; VGPRBlocks: 4
; NumSGPRsForWavesPerEU: 52
; NumVGPRsForWavesPerEU: 65
; NamedBarCnt: 0
; Occupancy: 12
; WaveLimiterHint : 1
; COMPUTE_PGM_RSRC2:SCRATCH_EN: 0
; COMPUTE_PGM_RSRC2:USER_SGPR: 2
; COMPUTE_PGM_RSRC2:TRAP_HANDLER: 0
; COMPUTE_PGM_RSRC2:TGID_X_EN: 1
; COMPUTE_PGM_RSRC2:TGID_Y_EN: 1
; COMPUTE_PGM_RSRC2:TGID_Z_EN: 1
; COMPUTE_PGM_RSRC2:TIDIG_COMP_CNT: 1
	.section	.text._ZL26rocblas_sger_gfx942_kernelILi256EfPKfPKS1_PKPfEviiT1_lT2_lllS8_lllT3_lll,"axG",@progbits,_ZL26rocblas_sger_gfx942_kernelILi256EfPKfPKS1_PKPfEviiT1_lT2_lllS8_lllT3_lll,comdat
	.globl	_ZL26rocblas_sger_gfx942_kernelILi256EfPKfPKS1_PKPfEviiT1_lT2_lllS8_lllT3_lll ; -- Begin function _ZL26rocblas_sger_gfx942_kernelILi256EfPKfPKS1_PKPfEviiT1_lT2_lllS8_lllT3_lll
	.p2align	8
	.type	_ZL26rocblas_sger_gfx942_kernelILi256EfPKfPKS1_PKPfEviiT1_lT2_lllS8_lllT3_lll,@function
_ZL26rocblas_sger_gfx942_kernelILi256EfPKfPKS1_PKPfEviiT1_lT2_lllS8_lllT3_lll: ; @_ZL26rocblas_sger_gfx942_kernelILi256EfPKfPKS1_PKPfEviiT1_lT2_lllS8_lllT3_lll
; %bb.0:
	s_endpgm
	.section	.rodata,"a",@progbits
	.p2align	6, 0x0
	.amdhsa_kernel _ZL26rocblas_sger_gfx942_kernelILi256EfPKfPKS1_PKPfEviiT1_lT2_lllS8_lllT3_lll
		.amdhsa_group_segment_fixed_size 0
		.amdhsa_private_segment_fixed_size 0
		.amdhsa_kernarg_size 120
		.amdhsa_user_sgpr_count 2
		.amdhsa_user_sgpr_dispatch_ptr 0
		.amdhsa_user_sgpr_queue_ptr 0
		.amdhsa_user_sgpr_kernarg_segment_ptr 1
		.amdhsa_user_sgpr_dispatch_id 0
		.amdhsa_user_sgpr_kernarg_preload_length 0
		.amdhsa_user_sgpr_kernarg_preload_offset 0
		.amdhsa_user_sgpr_private_segment_size 0
		.amdhsa_wavefront_size32 1
		.amdhsa_uses_dynamic_stack 0
		.amdhsa_enable_private_segment 0
		.amdhsa_system_sgpr_workgroup_id_x 1
		.amdhsa_system_sgpr_workgroup_id_y 0
		.amdhsa_system_sgpr_workgroup_id_z 0
		.amdhsa_system_sgpr_workgroup_info 0
		.amdhsa_system_vgpr_workitem_id 0
		.amdhsa_next_free_vgpr 1
		.amdhsa_next_free_sgpr 1
		.amdhsa_named_barrier_count 0
		.amdhsa_reserve_vcc 0
		.amdhsa_float_round_mode_32 0
		.amdhsa_float_round_mode_16_64 0
		.amdhsa_float_denorm_mode_32 3
		.amdhsa_float_denorm_mode_16_64 3
		.amdhsa_fp16_overflow 0
		.amdhsa_memory_ordered 1
		.amdhsa_forward_progress 1
		.amdhsa_inst_pref_size 1
		.amdhsa_round_robin_scheduling 0
		.amdhsa_exception_fp_ieee_invalid_op 0
		.amdhsa_exception_fp_denorm_src 0
		.amdhsa_exception_fp_ieee_div_zero 0
		.amdhsa_exception_fp_ieee_overflow 0
		.amdhsa_exception_fp_ieee_underflow 0
		.amdhsa_exception_fp_ieee_inexact 0
		.amdhsa_exception_int_div_zero 0
	.end_amdhsa_kernel
	.section	.text._ZL26rocblas_sger_gfx942_kernelILi256EfPKfPKS1_PKPfEviiT1_lT2_lllS8_lllT3_lll,"axG",@progbits,_ZL26rocblas_sger_gfx942_kernelILi256EfPKfPKS1_PKPfEviiT1_lT2_lllS8_lllT3_lll,comdat
.Lfunc_end35:
	.size	_ZL26rocblas_sger_gfx942_kernelILi256EfPKfPKS1_PKPfEviiT1_lT2_lllS8_lllT3_lll, .Lfunc_end35-_ZL26rocblas_sger_gfx942_kernelILi256EfPKfPKS1_PKPfEviiT1_lT2_lllS8_lllT3_lll
                                        ; -- End function
	.set _ZL26rocblas_sger_gfx942_kernelILi256EfPKfPKS1_PKPfEviiT1_lT2_lllS8_lllT3_lll.num_vgpr, 0
	.set _ZL26rocblas_sger_gfx942_kernelILi256EfPKfPKS1_PKPfEviiT1_lT2_lllS8_lllT3_lll.num_agpr, 0
	.set _ZL26rocblas_sger_gfx942_kernelILi256EfPKfPKS1_PKPfEviiT1_lT2_lllS8_lllT3_lll.numbered_sgpr, 0
	.set _ZL26rocblas_sger_gfx942_kernelILi256EfPKfPKS1_PKPfEviiT1_lT2_lllS8_lllT3_lll.num_named_barrier, 0
	.set _ZL26rocblas_sger_gfx942_kernelILi256EfPKfPKS1_PKPfEviiT1_lT2_lllS8_lllT3_lll.private_seg_size, 0
	.set _ZL26rocblas_sger_gfx942_kernelILi256EfPKfPKS1_PKPfEviiT1_lT2_lllS8_lllT3_lll.uses_vcc, 0
	.set _ZL26rocblas_sger_gfx942_kernelILi256EfPKfPKS1_PKPfEviiT1_lT2_lllS8_lllT3_lll.uses_flat_scratch, 0
	.set _ZL26rocblas_sger_gfx942_kernelILi256EfPKfPKS1_PKPfEviiT1_lT2_lllS8_lllT3_lll.has_dyn_sized_stack, 0
	.set _ZL26rocblas_sger_gfx942_kernelILi256EfPKfPKS1_PKPfEviiT1_lT2_lllS8_lllT3_lll.has_recursion, 0
	.set _ZL26rocblas_sger_gfx942_kernelILi256EfPKfPKS1_PKPfEviiT1_lT2_lllS8_lllT3_lll.has_indirect_call, 0
	.section	.AMDGPU.csdata,"",@progbits
; Kernel info:
; codeLenInByte = 4
; TotalNumSgprs: 0
; NumVgprs: 0
; ScratchSize: 0
; MemoryBound: 0
; FloatMode: 240
; IeeeMode: 1
; LDSByteSize: 0 bytes/workgroup (compile time only)
; SGPRBlocks: 0
; VGPRBlocks: 0
; NumSGPRsForWavesPerEU: 1
; NumVGPRsForWavesPerEU: 1
; NamedBarCnt: 0
; Occupancy: 16
; WaveLimiterHint : 0
; COMPUTE_PGM_RSRC2:SCRATCH_EN: 0
; COMPUTE_PGM_RSRC2:USER_SGPR: 2
; COMPUTE_PGM_RSRC2:TRAP_HANDLER: 0
; COMPUTE_PGM_RSRC2:TGID_X_EN: 1
; COMPUTE_PGM_RSRC2:TGID_Y_EN: 0
; COMPUTE_PGM_RSRC2:TGID_Z_EN: 0
; COMPUTE_PGM_RSRC2:TIDIG_COMP_CNT: 0
	.section	.text._ZL26rocblas_sger_gfx942_kernelILi256EffPKPKfPKPfEviiT1_lT2_lllS8_lllT3_lll,"axG",@progbits,_ZL26rocblas_sger_gfx942_kernelILi256EffPKPKfPKPfEviiT1_lT2_lllS8_lllT3_lll,comdat
	.globl	_ZL26rocblas_sger_gfx942_kernelILi256EffPKPKfPKPfEviiT1_lT2_lllS8_lllT3_lll ; -- Begin function _ZL26rocblas_sger_gfx942_kernelILi256EffPKPKfPKPfEviiT1_lT2_lllS8_lllT3_lll
	.p2align	8
	.type	_ZL26rocblas_sger_gfx942_kernelILi256EffPKPKfPKPfEviiT1_lT2_lllS8_lllT3_lll,@function
_ZL26rocblas_sger_gfx942_kernelILi256EffPKPKfPKPfEviiT1_lT2_lllS8_lllT3_lll: ; @_ZL26rocblas_sger_gfx942_kernelILi256EffPKPKfPKPfEviiT1_lT2_lllS8_lllT3_lll
; %bb.0:
	s_endpgm
	.section	.rodata,"a",@progbits
	.p2align	6, 0x0
	.amdhsa_kernel _ZL26rocblas_sger_gfx942_kernelILi256EffPKPKfPKPfEviiT1_lT2_lllS8_lllT3_lll
		.amdhsa_group_segment_fixed_size 0
		.amdhsa_private_segment_fixed_size 0
		.amdhsa_kernarg_size 120
		.amdhsa_user_sgpr_count 2
		.amdhsa_user_sgpr_dispatch_ptr 0
		.amdhsa_user_sgpr_queue_ptr 0
		.amdhsa_user_sgpr_kernarg_segment_ptr 1
		.amdhsa_user_sgpr_dispatch_id 0
		.amdhsa_user_sgpr_kernarg_preload_length 0
		.amdhsa_user_sgpr_kernarg_preload_offset 0
		.amdhsa_user_sgpr_private_segment_size 0
		.amdhsa_wavefront_size32 1
		.amdhsa_uses_dynamic_stack 0
		.amdhsa_enable_private_segment 0
		.amdhsa_system_sgpr_workgroup_id_x 1
		.amdhsa_system_sgpr_workgroup_id_y 0
		.amdhsa_system_sgpr_workgroup_id_z 0
		.amdhsa_system_sgpr_workgroup_info 0
		.amdhsa_system_vgpr_workitem_id 0
		.amdhsa_next_free_vgpr 1
		.amdhsa_next_free_sgpr 1
		.amdhsa_named_barrier_count 0
		.amdhsa_reserve_vcc 0
		.amdhsa_float_round_mode_32 0
		.amdhsa_float_round_mode_16_64 0
		.amdhsa_float_denorm_mode_32 3
		.amdhsa_float_denorm_mode_16_64 3
		.amdhsa_fp16_overflow 0
		.amdhsa_memory_ordered 1
		.amdhsa_forward_progress 1
		.amdhsa_inst_pref_size 1
		.amdhsa_round_robin_scheduling 0
		.amdhsa_exception_fp_ieee_invalid_op 0
		.amdhsa_exception_fp_denorm_src 0
		.amdhsa_exception_fp_ieee_div_zero 0
		.amdhsa_exception_fp_ieee_overflow 0
		.amdhsa_exception_fp_ieee_underflow 0
		.amdhsa_exception_fp_ieee_inexact 0
		.amdhsa_exception_int_div_zero 0
	.end_amdhsa_kernel
	.section	.text._ZL26rocblas_sger_gfx942_kernelILi256EffPKPKfPKPfEviiT1_lT2_lllS8_lllT3_lll,"axG",@progbits,_ZL26rocblas_sger_gfx942_kernelILi256EffPKPKfPKPfEviiT1_lT2_lllS8_lllT3_lll,comdat
.Lfunc_end36:
	.size	_ZL26rocblas_sger_gfx942_kernelILi256EffPKPKfPKPfEviiT1_lT2_lllS8_lllT3_lll, .Lfunc_end36-_ZL26rocblas_sger_gfx942_kernelILi256EffPKPKfPKPfEviiT1_lT2_lllS8_lllT3_lll
                                        ; -- End function
	.set _ZL26rocblas_sger_gfx942_kernelILi256EffPKPKfPKPfEviiT1_lT2_lllS8_lllT3_lll.num_vgpr, 0
	.set _ZL26rocblas_sger_gfx942_kernelILi256EffPKPKfPKPfEviiT1_lT2_lllS8_lllT3_lll.num_agpr, 0
	.set _ZL26rocblas_sger_gfx942_kernelILi256EffPKPKfPKPfEviiT1_lT2_lllS8_lllT3_lll.numbered_sgpr, 0
	.set _ZL26rocblas_sger_gfx942_kernelILi256EffPKPKfPKPfEviiT1_lT2_lllS8_lllT3_lll.num_named_barrier, 0
	.set _ZL26rocblas_sger_gfx942_kernelILi256EffPKPKfPKPfEviiT1_lT2_lllS8_lllT3_lll.private_seg_size, 0
	.set _ZL26rocblas_sger_gfx942_kernelILi256EffPKPKfPKPfEviiT1_lT2_lllS8_lllT3_lll.uses_vcc, 0
	.set _ZL26rocblas_sger_gfx942_kernelILi256EffPKPKfPKPfEviiT1_lT2_lllS8_lllT3_lll.uses_flat_scratch, 0
	.set _ZL26rocblas_sger_gfx942_kernelILi256EffPKPKfPKPfEviiT1_lT2_lllS8_lllT3_lll.has_dyn_sized_stack, 0
	.set _ZL26rocblas_sger_gfx942_kernelILi256EffPKPKfPKPfEviiT1_lT2_lllS8_lllT3_lll.has_recursion, 0
	.set _ZL26rocblas_sger_gfx942_kernelILi256EffPKPKfPKPfEviiT1_lT2_lllS8_lllT3_lll.has_indirect_call, 0
	.section	.AMDGPU.csdata,"",@progbits
; Kernel info:
; codeLenInByte = 4
; TotalNumSgprs: 0
; NumVgprs: 0
; ScratchSize: 0
; MemoryBound: 0
; FloatMode: 240
; IeeeMode: 1
; LDSByteSize: 0 bytes/workgroup (compile time only)
; SGPRBlocks: 0
; VGPRBlocks: 0
; NumSGPRsForWavesPerEU: 1
; NumVGPRsForWavesPerEU: 1
; NamedBarCnt: 0
; Occupancy: 16
; WaveLimiterHint : 0
; COMPUTE_PGM_RSRC2:SCRATCH_EN: 0
; COMPUTE_PGM_RSRC2:USER_SGPR: 2
; COMPUTE_PGM_RSRC2:TRAP_HANDLER: 0
; COMPUTE_PGM_RSRC2:TGID_X_EN: 1
; COMPUTE_PGM_RSRC2:TGID_Y_EN: 0
; COMPUTE_PGM_RSRC2:TGID_Z_EN: 0
; COMPUTE_PGM_RSRC2:TIDIG_COMP_CNT: 0
	.section	.text._ZL19rocblas_sger_kernelILi1024EfPKfPKS1_PKPfEviiT1_lT2_lllS8_lllT3_lmli,"axG",@progbits,_ZL19rocblas_sger_kernelILi1024EfPKfPKS1_PKPfEviiT1_lT2_lllS8_lllT3_lmli,comdat
	.globl	_ZL19rocblas_sger_kernelILi1024EfPKfPKS1_PKPfEviiT1_lT2_lllS8_lllT3_lmli ; -- Begin function _ZL19rocblas_sger_kernelILi1024EfPKfPKS1_PKPfEviiT1_lT2_lllS8_lllT3_lmli
	.p2align	8
	.type	_ZL19rocblas_sger_kernelILi1024EfPKfPKS1_PKPfEviiT1_lT2_lllS8_lllT3_lmli,@function
_ZL19rocblas_sger_kernelILi1024EfPKfPKS1_PKPfEviiT1_lT2_lllS8_lllT3_lmli: ; @_ZL19rocblas_sger_kernelILi1024EfPKfPKS1_PKPfEviiT1_lT2_lllS8_lllT3_lmli
; %bb.0:
	s_load_b32 s24, s[0:1], 0x78
	s_bfe_u32 s2, ttmp6, 0x40014
	s_lshr_b32 s3, ttmp7, 16
	s_add_co_i32 s2, s2, 1
	s_bfe_u32 s4, ttmp6, 0x40008
	s_mul_i32 s2, s3, s2
	s_getreg_b32 s18, hwreg(HW_REG_IB_STS2, 6, 4)
	s_add_co_i32 s4, s4, s2
	s_cmp_eq_u32 s18, 0
	s_cselect_b32 s2, s3, s4
	s_mov_b32 s3, 0
	s_wait_kmcnt 0x0
	s_cmp_ge_u32 s2, s24
	s_cbranch_scc1 .LBB37_8
; %bb.1:
	s_clause 0x7
	s_load_b32 s25, s[0:1], 0x0
	s_load_b128 s[20:23], s[0:1], 0x60
	s_load_b128 s[28:31], s[0:1], 0x40
	s_load_b64 s[12:13], s[0:1], 0x18
	s_load_b64 s[14:15], s[0:1], 0x58
	;; [unrolled: 1-line block ×3, first 2 shown]
	s_load_b128 s[8:11], s[0:1], 0x20
	s_load_b128 s[4:7], s[0:1], 0x8
	s_bfe_u32 s19, ttmp6, 0x4000c
	s_wait_xcnt 0x0
	s_and_b32 s0, ttmp6, 15
	s_add_co_i32 s19, s19, 1
	s_delay_alu instid0(SALU_CYCLE_1) | instskip(NEXT) | instid1(SALU_CYCLE_1)
	s_mul_i32 s1, ttmp9, s19
	s_add_co_i32 s0, s0, s1
	s_cmp_eq_u32 s18, 0
	s_cselect_b32 s26, ttmp9, s0
	s_delay_alu instid0(SALU_CYCLE_1)
	s_ashr_i32 s27, s26, 31
	s_wait_kmcnt 0x0
	v_cmp_gt_i32_e64 s0, s25, v0
	v_mov_b32_e32 v3, 0
	s_mul_u64 s[18:19], s[22:23], s[26:27]
	s_mul_u64 s[22:23], s[30:31], s[26:27]
	s_lshl_b64 s[20:21], s[20:21], 2
	s_delay_alu instid0(VALU_DEP_1) | instskip(SKIP_3) | instid1(VALU_DEP_1)
	v_dual_cndmask_b32 v2, 0, v0, s0 :: v_dual_mov_b32 v1, v3
	s_lshl_b64 s[26:27], s[8:9], 2
	s_lshl_b64 s[8:9], s[10:11], 12
	;; [unrolled: 1-line block ×3, first 2 shown]
	v_lshlrev_b32_e32 v2, 2, v2
	v_mul_u64_e32 v[4:5], s[10:11], v[0:1]
	s_lshl_b64 s[10:11], s[28:29], 2
	s_delay_alu instid0(VALU_DEP_1)
	v_lshl_add_u64 v[4:5], v[4:5], 2, s[26:27]
	s_branch .LBB37_4
.LBB37_2:                               ;   in Loop: Header=BB37_4 Depth=1
	s_or_b32 exec_lo, exec_lo, s1
.LBB37_3:                               ;   in Loop: Header=BB37_4 Depth=1
	s_add_co_i32 s2, s2, 0x10000
	s_delay_alu instid0(SALU_CYCLE_1)
	s_cmp_lt_u32 s2, s24
	s_cbranch_scc0 .LBB37_8
.LBB37_4:                               ; =>This Loop Header: Depth=1
                                        ;     Child Loop BB37_7 Depth 2
	s_wait_xcnt 0x0
	s_mul_u64 s[26:27], s[6:7], s[2:3]
	s_delay_alu instid0(SALU_CYCLE_1) | instskip(NEXT) | instid1(SALU_CYCLE_1)
	s_lshl_b64 s[26:27], s[26:27], 2
	s_add_nc_u64 s[26:27], s[4:5], s[26:27]
	global_load_b32 v1, v3, s[26:27]
	s_wait_loadcnt 0x0
	v_cmp_eq_f32_e32 vcc_lo, 0, v1
	s_cbranch_vccnz .LBB37_3
; %bb.5:                                ;   in Loop: Header=BB37_4 Depth=1
	s_wait_xcnt 0x0
	s_and_saveexec_b32 s1, s0
	s_cbranch_execz .LBB37_2
; %bb.6:                                ;   in Loop: Header=BB37_4 Depth=1
	s_lshl_b64 s[26:27], s[2:3], 3
	s_delay_alu instid0(SALU_CYCLE_1) | instskip(SKIP_4) | instid1(SALU_CYCLE_1)
	s_add_nc_u64 s[28:29], s[16:17], s[26:27]
	s_load_b64 s[28:29], s[28:29], 0x0
	s_wait_kmcnt 0x0
	s_wait_xcnt 0x0
	s_add_nc_u64 s[28:29], s[28:29], s[10:11]
	s_add_nc_u64 s[28:29], s[28:29], s[22:23]
	flat_load_b32 v10, v3, s[28:29]
	s_wait_xcnt 0x0
	s_add_nc_u64 s[28:29], s[14:15], s[26:27]
	s_add_nc_u64 s[26:27], s[12:13], s[26:27]
	s_load_b64 s[28:29], s[28:29], 0x0
	s_wait_kmcnt 0x0
	s_wait_xcnt 0x0
	s_add_nc_u64 s[28:29], s[28:29], s[20:21]
	s_load_b64 s[26:27], s[26:27], 0x0
	v_add_nc_u64_e32 v[8:9], s[28:29], v[2:3]
	s_delay_alu instid0(VALU_DEP_1)
	v_lshl_add_u64 v[8:9], s[18:19], 2, v[8:9]
	s_wait_kmcnt 0x0
	v_add_nc_u64_e32 v[6:7], s[26:27], v[4:5]
	s_wait_xcnt 0x0
	s_mov_b32 s26, 0
	s_wait_loadcnt_dscnt 0x0
	v_dual_mul_f32 v1, v1, v10 :: v_dual_mov_b32 v10, v0
.LBB37_7:                               ;   Parent Loop BB37_4 Depth=1
                                        ; =>  This Inner Loop Header: Depth=2
	flat_load_b32 v11, v[6:7]
	flat_load_b32 v12, v[8:9]
	v_add_nc_u32_e32 v10, 0x400, v10
	s_wait_xcnt 0x1
	v_add_nc_u64_e32 v[6:7], s[8:9], v[6:7]
	s_delay_alu instid0(VALU_DEP_2)
	v_cmp_le_i32_e32 vcc_lo, s25, v10
	s_or_b32 s26, vcc_lo, s26
	s_wait_loadcnt_dscnt 0x0
	v_fmac_f32_e32 v12, v1, v11
	flat_store_b32 v[8:9], v12
	s_wait_xcnt 0x0
	v_add_nc_u64_e32 v[8:9], 0x1000, v[8:9]
	s_and_not1_b32 exec_lo, exec_lo, s26
	s_cbranch_execnz .LBB37_7
	s_branch .LBB37_2
.LBB37_8:
	s_endpgm
	.section	.rodata,"a",@progbits
	.p2align	6, 0x0
	.amdhsa_kernel _ZL19rocblas_sger_kernelILi1024EfPKfPKS1_PKPfEviiT1_lT2_lllS8_lllT3_lmli
		.amdhsa_group_segment_fixed_size 0
		.amdhsa_private_segment_fixed_size 0
		.amdhsa_kernarg_size 124
		.amdhsa_user_sgpr_count 2
		.amdhsa_user_sgpr_dispatch_ptr 0
		.amdhsa_user_sgpr_queue_ptr 0
		.amdhsa_user_sgpr_kernarg_segment_ptr 1
		.amdhsa_user_sgpr_dispatch_id 0
		.amdhsa_user_sgpr_kernarg_preload_length 0
		.amdhsa_user_sgpr_kernarg_preload_offset 0
		.amdhsa_user_sgpr_private_segment_size 0
		.amdhsa_wavefront_size32 1
		.amdhsa_uses_dynamic_stack 0
		.amdhsa_enable_private_segment 0
		.amdhsa_system_sgpr_workgroup_id_x 1
		.amdhsa_system_sgpr_workgroup_id_y 0
		.amdhsa_system_sgpr_workgroup_id_z 1
		.amdhsa_system_sgpr_workgroup_info 0
		.amdhsa_system_vgpr_workitem_id 0
		.amdhsa_next_free_vgpr 13
		.amdhsa_next_free_sgpr 32
		.amdhsa_named_barrier_count 0
		.amdhsa_reserve_vcc 1
		.amdhsa_float_round_mode_32 0
		.amdhsa_float_round_mode_16_64 0
		.amdhsa_float_denorm_mode_32 3
		.amdhsa_float_denorm_mode_16_64 3
		.amdhsa_fp16_overflow 0
		.amdhsa_memory_ordered 1
		.amdhsa_forward_progress 1
		.amdhsa_inst_pref_size 5
		.amdhsa_round_robin_scheduling 0
		.amdhsa_exception_fp_ieee_invalid_op 0
		.amdhsa_exception_fp_denorm_src 0
		.amdhsa_exception_fp_ieee_div_zero 0
		.amdhsa_exception_fp_ieee_overflow 0
		.amdhsa_exception_fp_ieee_underflow 0
		.amdhsa_exception_fp_ieee_inexact 0
		.amdhsa_exception_int_div_zero 0
	.end_amdhsa_kernel
	.section	.text._ZL19rocblas_sger_kernelILi1024EfPKfPKS1_PKPfEviiT1_lT2_lllS8_lllT3_lmli,"axG",@progbits,_ZL19rocblas_sger_kernelILi1024EfPKfPKS1_PKPfEviiT1_lT2_lllS8_lllT3_lmli,comdat
.Lfunc_end37:
	.size	_ZL19rocblas_sger_kernelILi1024EfPKfPKS1_PKPfEviiT1_lT2_lllS8_lllT3_lmli, .Lfunc_end37-_ZL19rocblas_sger_kernelILi1024EfPKfPKS1_PKPfEviiT1_lT2_lllS8_lllT3_lmli
                                        ; -- End function
	.set _ZL19rocblas_sger_kernelILi1024EfPKfPKS1_PKPfEviiT1_lT2_lllS8_lllT3_lmli.num_vgpr, 13
	.set _ZL19rocblas_sger_kernelILi1024EfPKfPKS1_PKPfEviiT1_lT2_lllS8_lllT3_lmli.num_agpr, 0
	.set _ZL19rocblas_sger_kernelILi1024EfPKfPKS1_PKPfEviiT1_lT2_lllS8_lllT3_lmli.numbered_sgpr, 32
	.set _ZL19rocblas_sger_kernelILi1024EfPKfPKS1_PKPfEviiT1_lT2_lllS8_lllT3_lmli.num_named_barrier, 0
	.set _ZL19rocblas_sger_kernelILi1024EfPKfPKS1_PKPfEviiT1_lT2_lllS8_lllT3_lmli.private_seg_size, 0
	.set _ZL19rocblas_sger_kernelILi1024EfPKfPKS1_PKPfEviiT1_lT2_lllS8_lllT3_lmli.uses_vcc, 1
	.set _ZL19rocblas_sger_kernelILi1024EfPKfPKS1_PKPfEviiT1_lT2_lllS8_lllT3_lmli.uses_flat_scratch, 0
	.set _ZL19rocblas_sger_kernelILi1024EfPKfPKS1_PKPfEviiT1_lT2_lllS8_lllT3_lmli.has_dyn_sized_stack, 0
	.set _ZL19rocblas_sger_kernelILi1024EfPKfPKS1_PKPfEviiT1_lT2_lllS8_lllT3_lmli.has_recursion, 0
	.set _ZL19rocblas_sger_kernelILi1024EfPKfPKS1_PKPfEviiT1_lT2_lllS8_lllT3_lmli.has_indirect_call, 0
	.section	.AMDGPU.csdata,"",@progbits
; Kernel info:
; codeLenInByte = 580
; TotalNumSgprs: 34
; NumVgprs: 13
; ScratchSize: 0
; MemoryBound: 0
; FloatMode: 240
; IeeeMode: 1
; LDSByteSize: 0 bytes/workgroup (compile time only)
; SGPRBlocks: 0
; VGPRBlocks: 0
; NumSGPRsForWavesPerEU: 34
; NumVGPRsForWavesPerEU: 13
; NamedBarCnt: 0
; Occupancy: 16
; WaveLimiterHint : 1
; COMPUTE_PGM_RSRC2:SCRATCH_EN: 0
; COMPUTE_PGM_RSRC2:USER_SGPR: 2
; COMPUTE_PGM_RSRC2:TRAP_HANDLER: 0
; COMPUTE_PGM_RSRC2:TGID_X_EN: 1
; COMPUTE_PGM_RSRC2:TGID_Y_EN: 0
; COMPUTE_PGM_RSRC2:TGID_Z_EN: 1
; COMPUTE_PGM_RSRC2:TIDIG_COMP_CNT: 0
	.section	.text._ZL19rocblas_sger_kernelILi1024EffPKPKfPKPfEviiT1_lT2_lllS8_lllT3_lmli,"axG",@progbits,_ZL19rocblas_sger_kernelILi1024EffPKPKfPKPfEviiT1_lT2_lllS8_lllT3_lmli,comdat
	.globl	_ZL19rocblas_sger_kernelILi1024EffPKPKfPKPfEviiT1_lT2_lllS8_lllT3_lmli ; -- Begin function _ZL19rocblas_sger_kernelILi1024EffPKPKfPKPfEviiT1_lT2_lllS8_lllT3_lmli
	.p2align	8
	.type	_ZL19rocblas_sger_kernelILi1024EffPKPKfPKPfEviiT1_lT2_lllS8_lllT3_lmli,@function
_ZL19rocblas_sger_kernelILi1024EffPKPKfPKPfEviiT1_lT2_lllS8_lllT3_lmli: ; @_ZL19rocblas_sger_kernelILi1024EffPKPKfPKPfEviiT1_lT2_lllS8_lllT3_lmli
; %bb.0:
	s_load_b32 s18, s[0:1], 0x78
	s_bfe_u32 s2, ttmp6, 0x40014
	s_lshr_b32 s3, ttmp7, 16
	s_add_co_i32 s2, s2, 1
	s_bfe_u32 s4, ttmp6, 0x40008
	s_mul_i32 s2, s3, s2
	s_getreg_b32 s12, hwreg(HW_REG_IB_STS2, 6, 4)
	s_add_co_i32 s4, s4, s2
	s_cmp_eq_u32 s12, 0
	s_cselect_b32 s19, s3, s4
	s_wait_kmcnt 0x0
	s_cmp_ge_u32 s19, s18
	s_cbranch_scc1 .LBB38_8
; %bb.1:
	s_clause 0x7
	s_load_b32 s21, s[0:1], 0x0
	s_load_b128 s[24:27], s[0:1], 0x40
	s_load_b128 s[28:31], s[0:1], 0x60
	;; [unrolled: 1-line block ×3, first 2 shown]
	s_load_b32 s20, s[0:1], 0x8
	s_load_b64 s[2:3], s[0:1], 0x18
	s_load_b64 s[8:9], s[0:1], 0x38
	;; [unrolled: 1-line block ×3, first 2 shown]
	s_wait_kmcnt 0x0
	v_cmp_gt_i32_e64 s0, s21, v0
	v_mov_b32_e32 v3, 0
	s_cmp_neq_f32 s20, 0
	s_delay_alu instid0(VALU_DEP_1) | instskip(SKIP_2) | instid1(VALU_DEP_1)
	v_dual_cndmask_b32 v2, 0, v0, s0 :: v_dual_mov_b32 v1, v3
	s_cselect_b32 s22, -1, 0
	s_bfe_u32 s13, ttmp6, 0x4000c
	v_lshlrev_b32_e32 v2, 2, v2
	s_delay_alu instid0(VALU_DEP_2) | instskip(SKIP_3) | instid1(SALU_CYCLE_1)
	v_mul_u64_e32 v[4:5], s[6:7], v[0:1]
	s_add_co_i32 s13, s13, 1
	s_and_b32 s1, ttmp6, 15
	s_mul_i32 s13, ttmp9, s13
	s_add_co_i32 s1, s1, s13
	s_cmp_eq_u32 s12, 0
	s_cselect_b32 s12, ttmp9, s1
	s_lshl_b64 s[14:15], s[4:5], 2
	s_ashr_i32 s13, s12, 31
	s_lshl_b64 s[4:5], s[6:7], 12
	s_mul_u64 s[16:17], s[26:27], s[12:13]
	s_mul_u64 s[6:7], s[30:31], s[12:13]
	s_lshl_b64 s[12:13], s[24:25], 2
	s_lshl_b64 s[16:17], s[16:17], 2
	s_delay_alu instid0(VALU_DEP_1)
	v_lshl_add_u64 v[4:5], v[4:5], 2, s[14:15]
	s_lshl_b64 s[14:15], s[28:29], 2
	s_branch .LBB38_4
.LBB38_2:                               ;   in Loop: Header=BB38_4 Depth=1
	s_or_b32 exec_lo, exec_lo, s1
.LBB38_3:                               ;   in Loop: Header=BB38_4 Depth=1
	s_add_co_i32 s19, s19, 0x10000
	s_delay_alu instid0(SALU_CYCLE_1)
	s_cmp_lt_u32 s19, s18
	s_cbranch_scc0 .LBB38_8
.LBB38_4:                               ; =>This Loop Header: Depth=1
                                        ;     Child Loop BB38_7 Depth 2
	s_and_not1_b32 vcc_lo, exec_lo, s22
	s_cbranch_vccnz .LBB38_3
; %bb.5:                                ;   in Loop: Header=BB38_4 Depth=1
	s_and_saveexec_b32 s1, s0
	s_cbranch_execz .LBB38_2
; %bb.6:                                ;   in Loop: Header=BB38_4 Depth=1
	s_load_b64 s[24:25], s[8:9], s19 offset:0x0 scale_offset
	s_mov_b32 s23, 0
	v_mov_b32_e32 v10, v0
	s_wait_kmcnt 0x0
	s_add_nc_u64 s[24:25], s[24:25], s[12:13]
	s_delay_alu instid0(SALU_CYCLE_1)
	s_add_nc_u64 s[24:25], s[24:25], s[16:17]
	flat_load_b32 v1, v3, s[24:25]
	s_wait_xcnt 0x0
	s_load_b64 s[24:25], s[10:11], s19 offset:0x0 scale_offset
	s_load_b64 s[26:27], s[2:3], s19 offset:0x0 scale_offset
	s_wait_kmcnt 0x0
	s_add_nc_u64 s[24:25], s[24:25], s[14:15]
	v_add_nc_u64_e32 v[6:7], s[26:27], v[4:5]
	v_add_nc_u64_e32 v[8:9], s[24:25], v[2:3]
	s_delay_alu instid0(VALU_DEP_1)
	v_lshl_add_u64 v[8:9], s[6:7], 2, v[8:9]
	s_wait_loadcnt_dscnt 0x0
	v_mul_f32_e32 v1, s20, v1
.LBB38_7:                               ;   Parent Loop BB38_4 Depth=1
                                        ; =>  This Inner Loop Header: Depth=2
	flat_load_b32 v11, v[6:7]
	flat_load_b32 v12, v[8:9]
	v_add_nc_u32_e32 v10, 0x400, v10
	s_wait_xcnt 0x1
	v_add_nc_u64_e32 v[6:7], s[4:5], v[6:7]
	s_delay_alu instid0(VALU_DEP_2)
	v_cmp_le_i32_e32 vcc_lo, s21, v10
	s_or_b32 s23, vcc_lo, s23
	s_wait_loadcnt_dscnt 0x0
	v_fmac_f32_e32 v12, v1, v11
	flat_store_b32 v[8:9], v12
	s_wait_xcnt 0x0
	v_add_nc_u64_e32 v[8:9], 0x1000, v[8:9]
	s_and_not1_b32 exec_lo, exec_lo, s23
	s_cbranch_execnz .LBB38_7
	s_branch .LBB38_2
.LBB38_8:
	s_endpgm
	.section	.rodata,"a",@progbits
	.p2align	6, 0x0
	.amdhsa_kernel _ZL19rocblas_sger_kernelILi1024EffPKPKfPKPfEviiT1_lT2_lllS8_lllT3_lmli
		.amdhsa_group_segment_fixed_size 0
		.amdhsa_private_segment_fixed_size 0
		.amdhsa_kernarg_size 124
		.amdhsa_user_sgpr_count 2
		.amdhsa_user_sgpr_dispatch_ptr 0
		.amdhsa_user_sgpr_queue_ptr 0
		.amdhsa_user_sgpr_kernarg_segment_ptr 1
		.amdhsa_user_sgpr_dispatch_id 0
		.amdhsa_user_sgpr_kernarg_preload_length 0
		.amdhsa_user_sgpr_kernarg_preload_offset 0
		.amdhsa_user_sgpr_private_segment_size 0
		.amdhsa_wavefront_size32 1
		.amdhsa_uses_dynamic_stack 0
		.amdhsa_enable_private_segment 0
		.amdhsa_system_sgpr_workgroup_id_x 1
		.amdhsa_system_sgpr_workgroup_id_y 0
		.amdhsa_system_sgpr_workgroup_id_z 1
		.amdhsa_system_sgpr_workgroup_info 0
		.amdhsa_system_vgpr_workitem_id 0
		.amdhsa_next_free_vgpr 13
		.amdhsa_next_free_sgpr 32
		.amdhsa_named_barrier_count 0
		.amdhsa_reserve_vcc 1
		.amdhsa_float_round_mode_32 0
		.amdhsa_float_round_mode_16_64 0
		.amdhsa_float_denorm_mode_32 3
		.amdhsa_float_denorm_mode_16_64 3
		.amdhsa_fp16_overflow 0
		.amdhsa_memory_ordered 1
		.amdhsa_forward_progress 1
		.amdhsa_inst_pref_size 4
		.amdhsa_round_robin_scheduling 0
		.amdhsa_exception_fp_ieee_invalid_op 0
		.amdhsa_exception_fp_denorm_src 0
		.amdhsa_exception_fp_ieee_div_zero 0
		.amdhsa_exception_fp_ieee_overflow 0
		.amdhsa_exception_fp_ieee_underflow 0
		.amdhsa_exception_fp_ieee_inexact 0
		.amdhsa_exception_int_div_zero 0
	.end_amdhsa_kernel
	.section	.text._ZL19rocblas_sger_kernelILi1024EffPKPKfPKPfEviiT1_lT2_lllS8_lllT3_lmli,"axG",@progbits,_ZL19rocblas_sger_kernelILi1024EffPKPKfPKPfEviiT1_lT2_lllS8_lllT3_lmli,comdat
.Lfunc_end38:
	.size	_ZL19rocblas_sger_kernelILi1024EffPKPKfPKPfEviiT1_lT2_lllS8_lllT3_lmli, .Lfunc_end38-_ZL19rocblas_sger_kernelILi1024EffPKPKfPKPfEviiT1_lT2_lllS8_lllT3_lmli
                                        ; -- End function
	.set _ZL19rocblas_sger_kernelILi1024EffPKPKfPKPfEviiT1_lT2_lllS8_lllT3_lmli.num_vgpr, 13
	.set _ZL19rocblas_sger_kernelILi1024EffPKPKfPKPfEviiT1_lT2_lllS8_lllT3_lmli.num_agpr, 0
	.set _ZL19rocblas_sger_kernelILi1024EffPKPKfPKPfEviiT1_lT2_lllS8_lllT3_lmli.numbered_sgpr, 32
	.set _ZL19rocblas_sger_kernelILi1024EffPKPKfPKPfEviiT1_lT2_lllS8_lllT3_lmli.num_named_barrier, 0
	.set _ZL19rocblas_sger_kernelILi1024EffPKPKfPKPfEviiT1_lT2_lllS8_lllT3_lmli.private_seg_size, 0
	.set _ZL19rocblas_sger_kernelILi1024EffPKPKfPKPfEviiT1_lT2_lllS8_lllT3_lmli.uses_vcc, 1
	.set _ZL19rocblas_sger_kernelILi1024EffPKPKfPKPfEviiT1_lT2_lllS8_lllT3_lmli.uses_flat_scratch, 0
	.set _ZL19rocblas_sger_kernelILi1024EffPKPKfPKPfEviiT1_lT2_lllS8_lllT3_lmli.has_dyn_sized_stack, 0
	.set _ZL19rocblas_sger_kernelILi1024EffPKPKfPKPfEviiT1_lT2_lllS8_lllT3_lmli.has_recursion, 0
	.set _ZL19rocblas_sger_kernelILi1024EffPKPKfPKPfEviiT1_lT2_lllS8_lllT3_lmli.has_indirect_call, 0
	.section	.AMDGPU.csdata,"",@progbits
; Kernel info:
; codeLenInByte = 504
; TotalNumSgprs: 34
; NumVgprs: 13
; ScratchSize: 0
; MemoryBound: 0
; FloatMode: 240
; IeeeMode: 1
; LDSByteSize: 0 bytes/workgroup (compile time only)
; SGPRBlocks: 0
; VGPRBlocks: 0
; NumSGPRsForWavesPerEU: 34
; NumVGPRsForWavesPerEU: 13
; NamedBarCnt: 0
; Occupancy: 16
; WaveLimiterHint : 1
; COMPUTE_PGM_RSRC2:SCRATCH_EN: 0
; COMPUTE_PGM_RSRC2:USER_SGPR: 2
; COMPUTE_PGM_RSRC2:TRAP_HANDLER: 0
; COMPUTE_PGM_RSRC2:TGID_X_EN: 1
; COMPUTE_PGM_RSRC2:TGID_Y_EN: 0
; COMPUTE_PGM_RSRC2:TGID_Z_EN: 1
; COMPUTE_PGM_RSRC2:TIDIG_COMP_CNT: 0
	.section	.text._ZL18rocblas_ger_kernelILi32ELi32ELi2ELb0EfPKfPKS1_PKPfEviiT4_lT5_lllS8_lllT6_lmli,"axG",@progbits,_ZL18rocblas_ger_kernelILi32ELi32ELi2ELb0EfPKfPKS1_PKPfEviiT4_lT5_lllS8_lllT6_lmli,comdat
	.globl	_ZL18rocblas_ger_kernelILi32ELi32ELi2ELb0EfPKfPKS1_PKPfEviiT4_lT5_lllS8_lllT6_lmli ; -- Begin function _ZL18rocblas_ger_kernelILi32ELi32ELi2ELb0EfPKfPKS1_PKPfEviiT4_lT5_lllS8_lllT6_lmli
	.p2align	8
	.type	_ZL18rocblas_ger_kernelILi32ELi32ELi2ELb0EfPKfPKS1_PKPfEviiT4_lT5_lllS8_lllT6_lmli,@function
_ZL18rocblas_ger_kernelILi32ELi32ELi2ELb0EfPKfPKS1_PKPfEviiT4_lT5_lllS8_lllT6_lmli: ; @_ZL18rocblas_ger_kernelILi32ELi32ELi2ELb0EfPKfPKS1_PKPfEviiT4_lT5_lllS8_lllT6_lmli
; %bb.0:
	s_load_b32 s30, s[0:1], 0x78
	s_bfe_u32 s2, ttmp6, 0x40014
	s_lshr_b32 s3, ttmp7, 16
	s_add_co_i32 s2, s2, 1
	s_bfe_u32 s5, ttmp6, 0x40008
	s_mul_i32 s4, s3, s2
	s_getreg_b32 s2, hwreg(HW_REG_IB_STS2, 6, 4)
	s_add_co_i32 s5, s5, s4
	s_cmp_eq_u32 s2, 0
	s_mov_b32 s7, 0
	s_cselect_b32 s6, s3, s5
	s_wait_kmcnt 0x0
	s_cmp_ge_u32 s6, s30
	s_cbranch_scc1 .LBB39_18
; %bb.1:
	s_clause 0x1
	s_load_b64 s[4:5], s[0:1], 0x0
	s_load_b128 s[8:11], s[0:1], 0x8
	s_bfe_u32 s14, ttmp6, 0x4000c
	s_and_b32 s13, ttmp6, 15
	s_add_co_i32 s14, s14, 1
	s_load_b128 s[20:23], s[0:1], 0x60
	s_mul_i32 s14, ttmp9, s14
	v_bfe_u32 v14, v0, 10, 10
	s_add_co_i32 s16, s13, s14
	v_and_b32_e32 v18, 0x3ff, v0
	s_wait_kmcnt 0x0
	s_add_co_i32 s3, s4, -1
	s_delay_alu instid0(SALU_CYCLE_1) | instskip(NEXT) | instid1(SALU_CYCLE_1)
	s_ashr_i32 s12, s3, 31
	s_lshr_b32 s12, s12, 27
	s_delay_alu instid0(SALU_CYCLE_1) | instskip(NEXT) | instid1(SALU_CYCLE_1)
	s_add_co_i32 s3, s3, s12
	s_ashr_i32 s3, s3, 5
	s_delay_alu instid0(SALU_CYCLE_1) | instskip(SKIP_2) | instid1(SALU_CYCLE_3)
	s_add_co_i32 s24, s3, 1
	s_not_b32 s3, s3
	s_cvt_f32_u32 s12, s24
	v_rcp_iflag_f32_e32 v1, s12
	v_nop
	s_delay_alu instid0(TRANS32_DEP_1) | instskip(SKIP_2) | instid1(SALU_CYCLE_3)
	v_readfirstlane_b32 s12, v1
	v_lshlrev_b32_e32 v1, 1, v14
	s_mul_f32 s12, s12, 0x4f7ffffe
	s_cvt_u32_f32 s12, s12
	s_delay_alu instid0(SALU_CYCLE_3) | instskip(NEXT) | instid1(SALU_CYCLE_1)
	s_mul_i32 s3, s3, s12
	s_mul_hi_u32 s3, s12, s3
	s_delay_alu instid0(SALU_CYCLE_1)
	s_add_co_i32 s3, s12, s3
	s_cmp_eq_u32 s2, 0
	s_load_b128 s[12:15], s[0:1], 0x20
	s_cselect_b32 s2, ttmp9, s16
	s_load_b128 s[16:19], s[0:1], 0x40
	s_mul_hi_u32 s3, s2, s3
	s_delay_alu instid0(SALU_CYCLE_1) | instskip(SKIP_2) | instid1(SALU_CYCLE_1)
	s_mul_i32 s25, s3, s24
	s_add_co_i32 s26, s3, 1
	s_sub_co_i32 s25, s2, s25
	s_sub_co_i32 s27, s25, s24
	s_cmp_ge_u32 s25, s24
	s_cselect_b32 s3, s26, s3
	s_cselect_b32 s25, s27, s25
	s_add_co_i32 s26, s3, 1
	s_cmp_ge_u32 s25, s24
	s_cselect_b32 s3, s26, s3
	s_lshl_b64 s[20:21], s[20:21], 2
	v_lshl_add_u32 v12, s3, 6, v1
	s_mul_i32 s24, s3, s24
	v_mov_b32_e32 v3, 0
	s_sub_co_i32 s2, s2, s24
	s_wait_kmcnt 0x0
	s_lshl_b64 s[12:13], s[12:13], 2
	v_lshl_add_u32 v0, s2, 5, v18
	v_dual_ashrrev_i32 v13, 31, v12 :: v_dual_bitop2_b32 v16, 1, v12 bitop3:0x54
	v_or_b32_e32 v2, v12, v18
	v_cmp_gt_u32_e64 s2, 2, v18
	s_delay_alu instid0(VALU_DEP_4)
	v_ashrrev_i32_e32 v1, 31, v0
	s_lshl_b64 s[16:17], s[16:17], 2
	v_mul_u64_e32 v[8:9], s[22:23], v[12:13]
	v_dual_lshlrev_b32 v13, 2, v18 :: v_dual_ashrrev_i32 v17, 31, v16
	v_mul_u64_e32 v[4:5], s[18:19], v[2:3]
	v_mul_u64_e32 v[6:7], s[14:15], v[0:1]
	v_cmp_gt_u32_e64 s3, s5, v2
	s_delay_alu instid0(VALU_DEP_4)
	v_add_nc_u32_e32 v15, 0x100, v13
	v_mul_u64_e32 v[10:11], s[22:23], v[16:17]
	s_clause 0x2
	s_load_b64 s[14:15], s[0:1], 0x58
	s_load_b64 s[18:19], s[0:1], 0x18
	;; [unrolled: 1-line block ×3, first 2 shown]
	s_wait_xcnt 0x0
	v_cmp_eq_u32_e64 s0, 0, v14
	v_lshlrev_b32_e32 v14, 3, v14
	v_cmp_gt_i32_e64 s1, s4, v0
	v_cmp_gt_i32_e64 s4, s5, v12
	;; [unrolled: 1-line block ×3, first 2 shown]
	s_delay_alu instid0(VALU_DEP_4)
	v_add_nc_u32_e32 v2, v14, v13
	s_branch .LBB39_4
.LBB39_2:                               ;   in Loop: Header=BB39_4 Depth=1
	s_wait_xcnt 0x0
	s_or_b32 exec_lo, exec_lo, s26
.LBB39_3:                               ;   in Loop: Header=BB39_4 Depth=1
	s_add_co_i32 s6, s6, 0x10000
	s_delay_alu instid0(SALU_CYCLE_1)
	s_cmp_lt_u32 s6, s30
	s_cbranch_scc0 .LBB39_18
.LBB39_4:                               ; =>This Inner Loop Header: Depth=1
	s_wait_xcnt 0x0
	s_mul_u64 s[24:25], s[10:11], s[6:7]
	s_delay_alu instid0(SALU_CYCLE_1) | instskip(NEXT) | instid1(SALU_CYCLE_1)
	s_lshl_b64 s[24:25], s[24:25], 2
	s_add_nc_u64 s[24:25], s[8:9], s[24:25]
	global_load_b32 v12, v3, s[24:25]
	s_wait_loadcnt 0x0
	v_cmp_eq_f32_e32 vcc_lo, 0, v12
	s_cbranch_vccnz .LBB39_3
; %bb.5:                                ;   in Loop: Header=BB39_4 Depth=1
	s_lshl_b64 s[28:29], s[6:7], 3
	s_wait_kmcnt 0x0
	s_add_nc_u64 s[34:35], s[22:23], s[28:29]
	s_add_nc_u64 s[36:37], s[14:15], s[28:29]
	s_load_b64 s[26:27], s[34:35], 0x0
	s_load_b64 s[24:25], s[36:37], 0x0
	s_and_saveexec_b32 s31, s0
	s_cbranch_execz .LBB39_9
; %bb.6:                                ;   in Loop: Header=BB39_4 Depth=1
	v_mov_b32_e32 v13, 0
	s_and_saveexec_b32 s33, s1
	s_cbranch_execz .LBB39_8
; %bb.7:                                ;   in Loop: Header=BB39_4 Depth=1
	s_add_nc_u64 s[28:29], s[18:19], s[28:29]
	s_load_b64 s[28:29], s[28:29], 0x0
	s_wait_kmcnt 0x0
	s_wait_xcnt 0x0
	s_add_nc_u64 s[28:29], s[28:29], s[12:13]
	s_delay_alu instid0(SALU_CYCLE_1)
	v_lshl_add_u64 v[16:17], v[6:7], 2, s[28:29]
	flat_load_b32 v13, v[16:17]
.LBB39_8:                               ;   in Loop: Header=BB39_4 Depth=1
	s_wait_xcnt 0x0
	s_or_b32 exec_lo, exec_lo, s33
	s_wait_loadcnt_dscnt 0x0
	ds_store_b32 v15, v13
.LBB39_9:                               ;   in Loop: Header=BB39_4 Depth=1
	s_or_b32 exec_lo, exec_lo, s31
	s_and_saveexec_b32 s28, s2
	s_cbranch_execz .LBB39_13
; %bb.10:                               ;   in Loop: Header=BB39_4 Depth=1
	v_mov_b32_e32 v13, 0
	s_and_saveexec_b32 s29, s3
	s_cbranch_execz .LBB39_12
; %bb.11:                               ;   in Loop: Header=BB39_4 Depth=1
	s_wait_kmcnt 0x0
	s_add_nc_u64 s[26:27], s[26:27], s[16:17]
	s_delay_alu instid0(SALU_CYCLE_1)
	v_lshl_add_u64 v[16:17], v[4:5], 2, s[26:27]
	flat_load_b32 v13, v[16:17]
.LBB39_12:                              ;   in Loop: Header=BB39_4 Depth=1
	s_wait_xcnt 0x0
	s_or_b32 exec_lo, exec_lo, s29
	s_wait_loadcnt_dscnt 0x0
	ds_store_b32 v2, v13
.LBB39_13:                              ;   in Loop: Header=BB39_4 Depth=1
	s_or_b32 exec_lo, exec_lo, s28
	s_wait_dscnt 0x0
	s_barrier_signal -1
	s_barrier_wait -1
	s_wait_kmcnt 0x0
	s_and_saveexec_b32 s26, s1
	s_cbranch_execz .LBB39_2
; %bb.14:                               ;   in Loop: Header=BB39_4 Depth=1
	ds_load_b32 v13, v15
	s_add_nc_u64 s[24:25], s[24:25], s[20:21]
	s_wait_dscnt 0x0
	v_mul_f32_e32 v16, v12, v13
	v_lshl_add_u64 v[12:13], v[0:1], 2, s[24:25]
	s_and_saveexec_b32 s24, s4
	s_cbranch_execz .LBB39_16
; %bb.15:                               ;   in Loop: Header=BB39_4 Depth=1
	s_delay_alu instid0(VALU_DEP_1)
	v_lshl_add_u64 v[18:19], v[8:9], 2, v[12:13]
	ds_load_b32 v20, v14
	flat_load_b32 v17, v[18:19]
	s_wait_loadcnt_dscnt 0x0
	v_fmac_f32_e32 v17, v16, v20
	flat_store_b32 v[18:19], v17
.LBB39_16:                              ;   in Loop: Header=BB39_4 Depth=1
	s_wait_xcnt 0x0
	s_or_b32 exec_lo, exec_lo, s24
	s_delay_alu instid0(SALU_CYCLE_1)
	s_and_b32 exec_lo, exec_lo, s5
	s_cbranch_execz .LBB39_2
; %bb.17:                               ;   in Loop: Header=BB39_4 Depth=1
	v_lshl_add_u64 v[12:13], v[10:11], 2, v[12:13]
	ds_load_b32 v18, v14 offset:4
	flat_load_b32 v17, v[12:13]
	s_wait_loadcnt_dscnt 0x0
	v_fmac_f32_e32 v17, v16, v18
	flat_store_b32 v[12:13], v17
	s_branch .LBB39_2
.LBB39_18:
	s_endpgm
	.section	.rodata,"a",@progbits
	.p2align	6, 0x0
	.amdhsa_kernel _ZL18rocblas_ger_kernelILi32ELi32ELi2ELb0EfPKfPKS1_PKPfEviiT4_lT5_lllS8_lllT6_lmli
		.amdhsa_group_segment_fixed_size 384
		.amdhsa_private_segment_fixed_size 0
		.amdhsa_kernarg_size 124
		.amdhsa_user_sgpr_count 2
		.amdhsa_user_sgpr_dispatch_ptr 0
		.amdhsa_user_sgpr_queue_ptr 0
		.amdhsa_user_sgpr_kernarg_segment_ptr 1
		.amdhsa_user_sgpr_dispatch_id 0
		.amdhsa_user_sgpr_kernarg_preload_length 0
		.amdhsa_user_sgpr_kernarg_preload_offset 0
		.amdhsa_user_sgpr_private_segment_size 0
		.amdhsa_wavefront_size32 1
		.amdhsa_uses_dynamic_stack 0
		.amdhsa_enable_private_segment 0
		.amdhsa_system_sgpr_workgroup_id_x 1
		.amdhsa_system_sgpr_workgroup_id_y 0
		.amdhsa_system_sgpr_workgroup_id_z 1
		.amdhsa_system_sgpr_workgroup_info 0
		.amdhsa_system_vgpr_workitem_id 1
		.amdhsa_next_free_vgpr 21
		.amdhsa_next_free_sgpr 38
		.amdhsa_named_barrier_count 0
		.amdhsa_reserve_vcc 1
		.amdhsa_float_round_mode_32 0
		.amdhsa_float_round_mode_16_64 0
		.amdhsa_float_denorm_mode_32 3
		.amdhsa_float_denorm_mode_16_64 3
		.amdhsa_fp16_overflow 0
		.amdhsa_memory_ordered 1
		.amdhsa_forward_progress 1
		.amdhsa_inst_pref_size 8
		.amdhsa_round_robin_scheduling 0
		.amdhsa_exception_fp_ieee_invalid_op 0
		.amdhsa_exception_fp_denorm_src 0
		.amdhsa_exception_fp_ieee_div_zero 0
		.amdhsa_exception_fp_ieee_overflow 0
		.amdhsa_exception_fp_ieee_underflow 0
		.amdhsa_exception_fp_ieee_inexact 0
		.amdhsa_exception_int_div_zero 0
	.end_amdhsa_kernel
	.section	.text._ZL18rocblas_ger_kernelILi32ELi32ELi2ELb0EfPKfPKS1_PKPfEviiT4_lT5_lllS8_lllT6_lmli,"axG",@progbits,_ZL18rocblas_ger_kernelILi32ELi32ELi2ELb0EfPKfPKS1_PKPfEviiT4_lT5_lllS8_lllT6_lmli,comdat
.Lfunc_end39:
	.size	_ZL18rocblas_ger_kernelILi32ELi32ELi2ELb0EfPKfPKS1_PKPfEviiT4_lT5_lllS8_lllT6_lmli, .Lfunc_end39-_ZL18rocblas_ger_kernelILi32ELi32ELi2ELb0EfPKfPKS1_PKPfEviiT4_lT5_lllS8_lllT6_lmli
                                        ; -- End function
	.set _ZL18rocblas_ger_kernelILi32ELi32ELi2ELb0EfPKfPKS1_PKPfEviiT4_lT5_lllS8_lllT6_lmli.num_vgpr, 21
	.set _ZL18rocblas_ger_kernelILi32ELi32ELi2ELb0EfPKfPKS1_PKPfEviiT4_lT5_lllS8_lllT6_lmli.num_agpr, 0
	.set _ZL18rocblas_ger_kernelILi32ELi32ELi2ELb0EfPKfPKS1_PKPfEviiT4_lT5_lllS8_lllT6_lmli.numbered_sgpr, 38
	.set _ZL18rocblas_ger_kernelILi32ELi32ELi2ELb0EfPKfPKS1_PKPfEviiT4_lT5_lllS8_lllT6_lmli.num_named_barrier, 0
	.set _ZL18rocblas_ger_kernelILi32ELi32ELi2ELb0EfPKfPKS1_PKPfEviiT4_lT5_lllS8_lllT6_lmli.private_seg_size, 0
	.set _ZL18rocblas_ger_kernelILi32ELi32ELi2ELb0EfPKfPKS1_PKPfEviiT4_lT5_lllS8_lllT6_lmli.uses_vcc, 1
	.set _ZL18rocblas_ger_kernelILi32ELi32ELi2ELb0EfPKfPKS1_PKPfEviiT4_lT5_lllS8_lllT6_lmli.uses_flat_scratch, 0
	.set _ZL18rocblas_ger_kernelILi32ELi32ELi2ELb0EfPKfPKS1_PKPfEviiT4_lT5_lllS8_lllT6_lmli.has_dyn_sized_stack, 0
	.set _ZL18rocblas_ger_kernelILi32ELi32ELi2ELb0EfPKfPKS1_PKPfEviiT4_lT5_lllS8_lllT6_lmli.has_recursion, 0
	.set _ZL18rocblas_ger_kernelILi32ELi32ELi2ELb0EfPKfPKS1_PKPfEviiT4_lT5_lllS8_lllT6_lmli.has_indirect_call, 0
	.section	.AMDGPU.csdata,"",@progbits
; Kernel info:
; codeLenInByte = 972
; TotalNumSgprs: 40
; NumVgprs: 21
; ScratchSize: 0
; MemoryBound: 0
; FloatMode: 240
; IeeeMode: 1
; LDSByteSize: 384 bytes/workgroup (compile time only)
; SGPRBlocks: 0
; VGPRBlocks: 1
; NumSGPRsForWavesPerEU: 40
; NumVGPRsForWavesPerEU: 21
; NamedBarCnt: 0
; Occupancy: 16
; WaveLimiterHint : 1
; COMPUTE_PGM_RSRC2:SCRATCH_EN: 0
; COMPUTE_PGM_RSRC2:USER_SGPR: 2
; COMPUTE_PGM_RSRC2:TRAP_HANDLER: 0
; COMPUTE_PGM_RSRC2:TGID_X_EN: 1
; COMPUTE_PGM_RSRC2:TGID_Y_EN: 0
; COMPUTE_PGM_RSRC2:TGID_Z_EN: 1
; COMPUTE_PGM_RSRC2:TIDIG_COMP_CNT: 1
	.section	.text._ZL18rocblas_ger_kernelILi32ELi32ELi2ELb0EffPKPKfPKPfEviiT4_lT5_lllS8_lllT6_lmli,"axG",@progbits,_ZL18rocblas_ger_kernelILi32ELi32ELi2ELb0EffPKPKfPKPfEviiT4_lT5_lllS8_lllT6_lmli,comdat
	.globl	_ZL18rocblas_ger_kernelILi32ELi32ELi2ELb0EffPKPKfPKPfEviiT4_lT5_lllS8_lllT6_lmli ; -- Begin function _ZL18rocblas_ger_kernelILi32ELi32ELi2ELb0EffPKPKfPKPfEviiT4_lT5_lllS8_lllT6_lmli
	.p2align	8
	.type	_ZL18rocblas_ger_kernelILi32ELi32ELi2ELb0EffPKPKfPKPfEviiT4_lT5_lllS8_lllT6_lmli,@function
_ZL18rocblas_ger_kernelILi32ELi32ELi2ELb0EffPKPKfPKPfEviiT4_lT5_lllS8_lllT6_lmli: ; @_ZL18rocblas_ger_kernelILi32ELi32ELi2ELb0EffPKPKfPKPfEviiT4_lT5_lllS8_lllT6_lmli
; %bb.0:
	s_load_b32 s7, s[0:1], 0x78
	s_bfe_u32 s2, ttmp6, 0x40014
	s_lshr_b32 s3, ttmp7, 16
	s_add_co_i32 s2, s2, 1
	s_bfe_u32 s5, ttmp6, 0x40008
	s_mul_i32 s4, s3, s2
	s_getreg_b32 s2, hwreg(HW_REG_IB_STS2, 6, 4)
	s_add_co_i32 s5, s5, s4
	s_cmp_eq_u32 s2, 0
	s_mov_b32 s21, 0
	s_cselect_b32 s20, s3, s5
	s_wait_kmcnt 0x0
	s_cmp_ge_u32 s20, s7
	s_cbranch_scc1 .LBB40_18
; %bb.1:
	s_clause 0x1
	s_load_b96 s[4:6], s[0:1], 0x0
	s_load_b128 s[16:19], s[0:1], 0x60
	s_bfe_u32 s10, ttmp6, 0x4000c
	s_and_b32 s9, ttmp6, 15
	s_add_co_i32 s10, s10, 1
	v_bfe_u32 v12, v0, 10, 10
	s_mul_i32 s10, ttmp9, s10
	v_and_b32_e32 v18, 0x3ff, v0
	s_add_co_i32 s12, s9, s10
	s_wait_kmcnt 0x0
	s_add_co_i32 s3, s4, -1
	s_delay_alu instid0(SALU_CYCLE_1) | instskip(NEXT) | instid1(SALU_CYCLE_1)
	s_ashr_i32 s8, s3, 31
	s_lshr_b32 s8, s8, 27
	s_delay_alu instid0(SALU_CYCLE_1) | instskip(NEXT) | instid1(SALU_CYCLE_1)
	s_add_co_i32 s3, s3, s8
	s_ashr_i32 s3, s3, 5
	s_delay_alu instid0(SALU_CYCLE_1) | instskip(SKIP_2) | instid1(SALU_CYCLE_3)
	s_add_co_i32 s22, s3, 1
	s_not_b32 s3, s3
	s_cvt_f32_u32 s8, s22
	v_rcp_iflag_f32_e32 v1, s8
	v_nop
	s_delay_alu instid0(TRANS32_DEP_1) | instskip(SKIP_2) | instid1(SALU_CYCLE_3)
	v_readfirstlane_b32 s8, v1
	v_lshlrev_b32_e32 v1, 1, v12
	s_mul_f32 s8, s8, 0x4f7ffffe
	s_cvt_u32_f32 s8, s8
	s_delay_alu instid0(SALU_CYCLE_3) | instskip(NEXT) | instid1(SALU_CYCLE_1)
	s_mul_i32 s3, s3, s8
	s_mul_hi_u32 s3, s8, s3
	s_delay_alu instid0(SALU_CYCLE_1)
	s_add_co_i32 s3, s8, s3
	s_cmp_eq_u32 s2, 0
	s_load_b128 s[8:11], s[0:1], 0x20
	s_cselect_b32 s2, ttmp9, s12
	s_load_b128 s[12:15], s[0:1], 0x40
	s_mul_hi_u32 s3, s2, s3
	s_delay_alu instid0(SALU_CYCLE_1) | instskip(SKIP_2) | instid1(SALU_CYCLE_1)
	s_mul_i32 s23, s3, s22
	s_add_co_i32 s24, s3, 1
	s_sub_co_i32 s23, s2, s23
	s_sub_co_i32 s25, s23, s22
	s_cmp_ge_u32 s23, s22
	s_cselect_b32 s3, s24, s3
	s_cselect_b32 s23, s25, s23
	s_add_co_i32 s24, s3, 1
	s_cmp_ge_u32 s23, s22
	s_cselect_b32 s3, s24, s3
	s_delay_alu instid0(SALU_CYCLE_1)
	v_lshl_add_u32 v10, s3, 6, v1
	s_mul_i32 s22, s3, s22
	v_mov_b32_e32 v15, 0
	s_sub_co_i32 s2, s2, s22
	s_cmp_neq_f32 s6, 0
	v_lshl_add_u32 v0, s2, 5, v18
	v_or_b32_e32 v16, 1, v10
	v_or_b32_e32 v14, v10, v18
	v_cmp_gt_u32_e64 s2, 2, v18
	s_delay_alu instid0(VALU_DEP_4) | instskip(NEXT) | instid1(VALU_DEP_4)
	v_dual_ashrrev_i32 v11, 31, v10 :: v_dual_ashrrev_i32 v1, 31, v0
	v_ashrrev_i32_e32 v17, 31, v16
	s_wait_kmcnt 0x0
	v_mul_u64_e32 v[2:3], s[14:15], v[14:15]
	v_cmp_gt_u32_e64 s3, s5, v14
	v_mul_u64_e32 v[6:7], s[18:19], v[10:11]
	v_mul_u64_e32 v[4:5], s[10:11], v[0:1]
	v_lshlrev_b32_e32 v11, 2, v18
	v_mul_u64_e32 v[8:9], s[18:19], v[16:17]
	s_clause 0x2
	s_load_b64 s[10:11], s[0:1], 0x58
	s_load_b64 s[14:15], s[0:1], 0x18
	;; [unrolled: 1-line block ×3, first 2 shown]
	s_wait_xcnt 0x0
	v_cmp_eq_u32_e64 s0, 0, v12
	v_lshlrev_b32_e32 v12, 3, v12
	v_cmp_gt_i32_e64 s1, s4, v0
	v_add_nc_u32_e32 v13, 0x100, v11
	v_cmp_gt_i32_e64 s4, s5, v10
	v_cmp_gt_i32_e64 s5, s5, v16
	v_add_nc_u32_e32 v14, v12, v11
	s_cselect_b32 s26, -1, 0
	s_lshl_b64 s[8:9], s[8:9], 2
	s_lshl_b64 s[12:13], s[12:13], 2
	;; [unrolled: 1-line block ×3, first 2 shown]
	s_branch .LBB40_4
.LBB40_2:                               ;   in Loop: Header=BB40_4 Depth=1
	s_wait_xcnt 0x0
	s_or_b32 exec_lo, exec_lo, s24
.LBB40_3:                               ;   in Loop: Header=BB40_4 Depth=1
	s_add_co_i32 s20, s20, 0x10000
	s_delay_alu instid0(SALU_CYCLE_1)
	s_cmp_lt_u32 s20, s7
	s_cbranch_scc0 .LBB40_18
.LBB40_4:                               ; =>This Inner Loop Header: Depth=1
	s_and_not1_b32 vcc_lo, exec_lo, s26
	s_cbranch_vccnz .LBB40_3
; %bb.5:                                ;   in Loop: Header=BB40_4 Depth=1
	s_wait_kmcnt 0x0
	s_load_b64 s[24:25], s[18:19], s20 offset:0x0 scale_offset
	s_load_b64 s[22:23], s[10:11], s20 offset:0x0 scale_offset
	s_and_saveexec_b32 s27, s0
	s_cbranch_execz .LBB40_9
; %bb.6:                                ;   in Loop: Header=BB40_4 Depth=1
	v_mov_b32_e32 v10, 0
	s_and_saveexec_b32 s28, s1
	s_cbranch_execz .LBB40_8
; %bb.7:                                ;   in Loop: Header=BB40_4 Depth=1
	s_lshl_b64 s[30:31], s[20:21], 3
	s_delay_alu instid0(SALU_CYCLE_1) | instskip(SKIP_4) | instid1(SALU_CYCLE_1)
	s_add_nc_u64 s[30:31], s[14:15], s[30:31]
	s_load_b64 s[30:31], s[30:31], 0x0
	s_wait_kmcnt 0x0
	s_wait_xcnt 0x0
	s_add_nc_u64 s[30:31], s[30:31], s[8:9]
	v_lshl_add_u64 v[10:11], v[4:5], 2, s[30:31]
	flat_load_b32 v10, v[10:11]
.LBB40_8:                               ;   in Loop: Header=BB40_4 Depth=1
	s_wait_xcnt 0x0
	s_or_b32 exec_lo, exec_lo, s28
	s_wait_loadcnt_dscnt 0x0
	ds_store_b32 v13, v10
.LBB40_9:                               ;   in Loop: Header=BB40_4 Depth=1
	s_or_b32 exec_lo, exec_lo, s27
	s_and_saveexec_b32 s27, s2
	s_cbranch_execz .LBB40_13
; %bb.10:                               ;   in Loop: Header=BB40_4 Depth=1
	v_mov_b32_e32 v10, 0
	s_and_saveexec_b32 s28, s3
	s_cbranch_execz .LBB40_12
; %bb.11:                               ;   in Loop: Header=BB40_4 Depth=1
	s_wait_kmcnt 0x0
	s_add_nc_u64 s[24:25], s[24:25], s[12:13]
	s_delay_alu instid0(SALU_CYCLE_1)
	v_lshl_add_u64 v[10:11], v[2:3], 2, s[24:25]
	flat_load_b32 v10, v[10:11]
.LBB40_12:                              ;   in Loop: Header=BB40_4 Depth=1
	s_wait_xcnt 0x0
	s_or_b32 exec_lo, exec_lo, s28
	s_wait_loadcnt_dscnt 0x0
	ds_store_b32 v14, v10
.LBB40_13:                              ;   in Loop: Header=BB40_4 Depth=1
	s_or_b32 exec_lo, exec_lo, s27
	s_wait_dscnt 0x0
	s_barrier_signal -1
	s_barrier_wait -1
	s_wait_kmcnt 0x0
	s_and_saveexec_b32 s24, s1
	s_cbranch_execz .LBB40_2
; %bb.14:                               ;   in Loop: Header=BB40_4 Depth=1
	ds_load_b32 v10, v13
	s_add_nc_u64 s[22:23], s[22:23], s[16:17]
	s_wait_dscnt 0x0
	v_mul_f32_e32 v15, s6, v10
	v_lshl_add_u64 v[10:11], v[0:1], 2, s[22:23]
	s_and_saveexec_b32 s22, s4
	s_cbranch_execz .LBB40_16
; %bb.15:                               ;   in Loop: Header=BB40_4 Depth=1
	s_delay_alu instid0(VALU_DEP_1)
	v_lshl_add_u64 v[16:17], v[6:7], 2, v[10:11]
	ds_load_b32 v19, v12
	flat_load_b32 v18, v[16:17]
	s_wait_loadcnt_dscnt 0x0
	v_fmac_f32_e32 v18, v15, v19
	flat_store_b32 v[16:17], v18
.LBB40_16:                              ;   in Loop: Header=BB40_4 Depth=1
	s_wait_xcnt 0x0
	s_or_b32 exec_lo, exec_lo, s22
	s_delay_alu instid0(SALU_CYCLE_1)
	s_and_b32 exec_lo, exec_lo, s5
	s_cbranch_execz .LBB40_2
; %bb.17:                               ;   in Loop: Header=BB40_4 Depth=1
	v_lshl_add_u64 v[10:11], v[8:9], 2, v[10:11]
	ds_load_b32 v17, v12 offset:4
	flat_load_b32 v16, v[10:11]
	s_wait_loadcnt_dscnt 0x0
	v_fmac_f32_e32 v16, v15, v17
	flat_store_b32 v[10:11], v16
	s_branch .LBB40_2
.LBB40_18:
	s_endpgm
	.section	.rodata,"a",@progbits
	.p2align	6, 0x0
	.amdhsa_kernel _ZL18rocblas_ger_kernelILi32ELi32ELi2ELb0EffPKPKfPKPfEviiT4_lT5_lllS8_lllT6_lmli
		.amdhsa_group_segment_fixed_size 384
		.amdhsa_private_segment_fixed_size 0
		.amdhsa_kernarg_size 124
		.amdhsa_user_sgpr_count 2
		.amdhsa_user_sgpr_dispatch_ptr 0
		.amdhsa_user_sgpr_queue_ptr 0
		.amdhsa_user_sgpr_kernarg_segment_ptr 1
		.amdhsa_user_sgpr_dispatch_id 0
		.amdhsa_user_sgpr_kernarg_preload_length 0
		.amdhsa_user_sgpr_kernarg_preload_offset 0
		.amdhsa_user_sgpr_private_segment_size 0
		.amdhsa_wavefront_size32 1
		.amdhsa_uses_dynamic_stack 0
		.amdhsa_enable_private_segment 0
		.amdhsa_system_sgpr_workgroup_id_x 1
		.amdhsa_system_sgpr_workgroup_id_y 0
		.amdhsa_system_sgpr_workgroup_id_z 1
		.amdhsa_system_sgpr_workgroup_info 0
		.amdhsa_system_vgpr_workitem_id 1
		.amdhsa_next_free_vgpr 20
		.amdhsa_next_free_sgpr 32
		.amdhsa_named_barrier_count 0
		.amdhsa_reserve_vcc 1
		.amdhsa_float_round_mode_32 0
		.amdhsa_float_round_mode_16_64 0
		.amdhsa_float_denorm_mode_32 3
		.amdhsa_float_denorm_mode_16_64 3
		.amdhsa_fp16_overflow 0
		.amdhsa_memory_ordered 1
		.amdhsa_forward_progress 1
		.amdhsa_inst_pref_size 8
		.amdhsa_round_robin_scheduling 0
		.amdhsa_exception_fp_ieee_invalid_op 0
		.amdhsa_exception_fp_denorm_src 0
		.amdhsa_exception_fp_ieee_div_zero 0
		.amdhsa_exception_fp_ieee_overflow 0
		.amdhsa_exception_fp_ieee_underflow 0
		.amdhsa_exception_fp_ieee_inexact 0
		.amdhsa_exception_int_div_zero 0
	.end_amdhsa_kernel
	.section	.text._ZL18rocblas_ger_kernelILi32ELi32ELi2ELb0EffPKPKfPKPfEviiT4_lT5_lllS8_lllT6_lmli,"axG",@progbits,_ZL18rocblas_ger_kernelILi32ELi32ELi2ELb0EffPKPKfPKPfEviiT4_lT5_lllS8_lllT6_lmli,comdat
.Lfunc_end40:
	.size	_ZL18rocblas_ger_kernelILi32ELi32ELi2ELb0EffPKPKfPKPfEviiT4_lT5_lllS8_lllT6_lmli, .Lfunc_end40-_ZL18rocblas_ger_kernelILi32ELi32ELi2ELb0EffPKPKfPKPfEviiT4_lT5_lllS8_lllT6_lmli
                                        ; -- End function
	.set _ZL18rocblas_ger_kernelILi32ELi32ELi2ELb0EffPKPKfPKPfEviiT4_lT5_lllS8_lllT6_lmli.num_vgpr, 20
	.set _ZL18rocblas_ger_kernelILi32ELi32ELi2ELb0EffPKPKfPKPfEviiT4_lT5_lllS8_lllT6_lmli.num_agpr, 0
	.set _ZL18rocblas_ger_kernelILi32ELi32ELi2ELb0EffPKPKfPKPfEviiT4_lT5_lllS8_lllT6_lmli.numbered_sgpr, 32
	.set _ZL18rocblas_ger_kernelILi32ELi32ELi2ELb0EffPKPKfPKPfEviiT4_lT5_lllS8_lllT6_lmli.num_named_barrier, 0
	.set _ZL18rocblas_ger_kernelILi32ELi32ELi2ELb0EffPKPKfPKPfEviiT4_lT5_lllS8_lllT6_lmli.private_seg_size, 0
	.set _ZL18rocblas_ger_kernelILi32ELi32ELi2ELb0EffPKPKfPKPfEviiT4_lT5_lllS8_lllT6_lmli.uses_vcc, 1
	.set _ZL18rocblas_ger_kernelILi32ELi32ELi2ELb0EffPKPKfPKPfEviiT4_lT5_lllS8_lllT6_lmli.uses_flat_scratch, 0
	.set _ZL18rocblas_ger_kernelILi32ELi32ELi2ELb0EffPKPKfPKPfEviiT4_lT5_lllS8_lllT6_lmli.has_dyn_sized_stack, 0
	.set _ZL18rocblas_ger_kernelILi32ELi32ELi2ELb0EffPKPKfPKPfEviiT4_lT5_lllS8_lllT6_lmli.has_recursion, 0
	.set _ZL18rocblas_ger_kernelILi32ELi32ELi2ELb0EffPKPKfPKPfEviiT4_lT5_lllS8_lllT6_lmli.has_indirect_call, 0
	.section	.AMDGPU.csdata,"",@progbits
; Kernel info:
; codeLenInByte = 920
; TotalNumSgprs: 34
; NumVgprs: 20
; ScratchSize: 0
; MemoryBound: 0
; FloatMode: 240
; IeeeMode: 1
; LDSByteSize: 384 bytes/workgroup (compile time only)
; SGPRBlocks: 0
; VGPRBlocks: 1
; NumSGPRsForWavesPerEU: 34
; NumVGPRsForWavesPerEU: 20
; NamedBarCnt: 0
; Occupancy: 16
; WaveLimiterHint : 1
; COMPUTE_PGM_RSRC2:SCRATCH_EN: 0
; COMPUTE_PGM_RSRC2:USER_SGPR: 2
; COMPUTE_PGM_RSRC2:TRAP_HANDLER: 0
; COMPUTE_PGM_RSRC2:TGID_X_EN: 1
; COMPUTE_PGM_RSRC2:TGID_Y_EN: 0
; COMPUTE_PGM_RSRC2:TGID_Z_EN: 1
; COMPUTE_PGM_RSRC2:TIDIG_COMP_CNT: 1
	.section	.text._ZL34rocblas_ger_double_buffered_kernelILb0ELi64ELi16ELi2Ed24rocblas_internal_val_ptrIdEPKPKdPKPdEvbiiT4_lT5_lllSA_lllT6_lmli,"axG",@progbits,_ZL34rocblas_ger_double_buffered_kernelILb0ELi64ELi16ELi2Ed24rocblas_internal_val_ptrIdEPKPKdPKPdEvbiiT4_lT5_lllSA_lllT6_lmli,comdat
	.globl	_ZL34rocblas_ger_double_buffered_kernelILb0ELi64ELi16ELi2Ed24rocblas_internal_val_ptrIdEPKPKdPKPdEvbiiT4_lT5_lllSA_lllT6_lmli ; -- Begin function _ZL34rocblas_ger_double_buffered_kernelILb0ELi64ELi16ELi2Ed24rocblas_internal_val_ptrIdEPKPKdPKPdEvbiiT4_lT5_lllSA_lllT6_lmli
	.p2align	8
	.type	_ZL34rocblas_ger_double_buffered_kernelILb0ELi64ELi16ELi2Ed24rocblas_internal_val_ptrIdEPKPKdPKPdEvbiiT4_lT5_lllSA_lllT6_lmli,@function
_ZL34rocblas_ger_double_buffered_kernelILb0ELi64ELi16ELi2Ed24rocblas_internal_val_ptrIdEPKPKdPKPdEvbiiT4_lT5_lllSA_lllT6_lmli: ; @_ZL34rocblas_ger_double_buffered_kernelILb0ELi64ELi16ELi2Ed24rocblas_internal_val_ptrIdEPKPKdPKPdEvbiiT4_lT5_lllSA_lllT6_lmli
; %bb.0:
	s_load_b32 s28, s[0:1], 0x80
	s_bfe_u32 s2, ttmp6, 0x40014
	s_lshr_b32 s3, ttmp7, 16
	s_add_co_i32 s2, s2, 1
	s_bfe_u32 s4, ttmp6, 0x40008
	s_mul_i32 s2, s3, s2
	s_getreg_b32 s24, hwreg(HW_REG_IB_STS2, 6, 4)
	s_add_co_i32 s4, s4, s2
	s_cmp_eq_u32 s24, 0
	s_cselect_b32 s2, s3, s4
	s_mov_b32 s3, 0
	s_wait_kmcnt 0x0
	s_cmp_ge_u32 s2, s28
	s_cbranch_scc1 .LBB41_7
; %bb.1:
	v_lshrrev_b32_e32 v1, 4, v0
	s_clause 0x1
	s_load_b32 s25, s[0:1], 0x0
	s_load_b128 s[4:7], s[0:1], 0x68
	v_and_b32_e32 v2, 0x3ff, v0
	s_clause 0x2
	s_load_b128 s[12:15], s[0:1], 0x48
	s_load_b128 s[16:19], s[0:1], 0x28
	s_load_b64 s[20:21], s[0:1], 0x60
	v_and_b32_e32 v1, 0xffc0, v1
	s_clause 0x1
	s_load_b64 s[22:23], s[0:1], 0x20
	s_load_b128 s[8:11], s[0:1], 0x10
	s_delay_alu instid0(VALU_DEP_1) | instskip(SKIP_3) | instid1(VALU_DEP_2)
	v_dual_mov_b32 v1, 0 :: v_dual_add_nc_u32 v2, v1, v2
	v_and_b32_e32 v12, 31, v0
	s_wait_xcnt 0x0
	s_load_b64 s[0:1], s[0:1], 0x40
	v_dual_mov_b32 v13, v1 :: v_dual_lshrrev_b32 v6, 4, v2
	s_delay_alu instid0(VALU_DEP_2) | instskip(SKIP_2) | instid1(VALU_DEP_2)
	v_dual_mov_b32 v9, v1 :: v_dual_bitop2_b32 v8, 32, v12 bitop3:0x54
	s_wait_kmcnt 0x0
	s_bitcmp1_b32 s25, 0
	v_and_b32_e32 v0, 0x1ffe, v6
	s_cselect_b32 s25, -1, 0
	v_mul_u64_e32 v[8:9], s[18:19], v[8:9]
	s_xor_b32 s29, s25, -1
	s_bfe_u32 s25, ttmp6, 0x4000c
	v_mul_u64_e32 v[2:3], s[6:7], v[0:1]
	v_mul_u64_e32 v[4:5], s[14:15], v[0:1]
	v_or_b32_e32 v0, 1, v6
	v_mul_u64_e32 v[6:7], s[18:19], v[12:13]
	s_bfe_u32 s27, ttmp6, 0x40010
	s_add_co_i32 s25, s25, 1
	s_and_b32 s30, ttmp7, 0xffff
	v_mul_u64_e32 v[10:11], s[14:15], v[0:1]
	s_add_co_i32 s27, s27, 1
	s_and_b32 s26, ttmp6, 15
	s_mul_i32 s25, ttmp9, s25
	s_mul_i32 s27, s30, s27
	s_bfe_u32 s31, ttmp6, 0x40004
	s_add_co_i32 s26, s26, s25
	s_add_co_i32 s31, s31, s27
	s_cmp_eq_u32 s24, 0
	s_mov_b32 s27, s3
	s_cselect_b32 s24, ttmp9, s26
	s_cselect_b32 s25, s30, s31
	s_lshl_b32 s24, s24, 6
	s_lshl_b32 s26, s25, 6
	s_ashr_i32 s25, s24, 31
	v_lshlrev_b32_e32 v0, 3, v12
	s_mul_u64 s[30:31], s[6:7], s[26:27]
	s_mul_u64 s[34:35], s[18:19], s[24:25]
	;; [unrolled: 1-line block ×3, first 2 shown]
	s_lshl_b64 s[4:5], s[4:5], 3
	s_lshl_b64 s[14:15], s[16:17], 3
	;; [unrolled: 1-line block ×7, first 2 shown]
	s_branch .LBB41_3
.LBB41_2:                               ;   in Loop: Header=BB41_3 Depth=1
	s_wait_xcnt 0x0
	s_or_b32 exec_lo, exec_lo, s30
	s_add_co_i32 s2, s2, 0x10000
	s_delay_alu instid0(SALU_CYCLE_1)
	s_cmp_lt_u32 s2, s28
	s_cbranch_scc0 .LBB41_7
.LBB41_3:                               ; =>This Inner Loop Header: Depth=1
	v_mov_b64_e32 v[12:13], s[8:9]
	s_and_not1_b32 vcc_lo, exec_lo, s29
	s_cbranch_vccnz .LBB41_5
; %bb.4:                                ;   in Loop: Header=BB41_3 Depth=1
	s_mul_u64 s[30:31], s[10:11], s[2:3]
	s_delay_alu instid0(SALU_CYCLE_1) | instskip(NEXT) | instid1(SALU_CYCLE_1)
	s_lshl_b64 s[30:31], s[30:31], 3
	s_add_nc_u64 s[30:31], s[8:9], s[30:31]
	flat_load_b64 v[12:13], v1, s[30:31]
.LBB41_5:                               ;   in Loop: Header=BB41_3 Depth=1
	s_wait_xcnt 0x0
	s_mov_b32 s30, exec_lo
	s_wait_loadcnt_dscnt 0x0
	s_delay_alu instid0(VALU_DEP_1)
	v_cmpx_neq_f64_e32 0, v[12:13]
	s_cbranch_execz .LBB41_2
; %bb.6:                                ;   in Loop: Header=BB41_3 Depth=1
	s_load_b64 s[34:35], s[22:23], s2 offset:0x0 scale_offset
	s_load_b64 s[36:37], s[20:21], s2 offset:0x0 scale_offset
	s_wait_kmcnt 0x0
	s_add_nc_u64 s[34:35], s[34:35], s[14:15]
	s_add_nc_u64 s[36:37], s[36:37], s[4:5]
	;; [unrolled: 1-line block ×4, first 2 shown]
	v_lshl_add_u64 v[14:15], v[6:7], 3, s[34:35]
	v_lshl_add_u64 v[16:17], v[8:9], 3, s[34:35]
	s_load_b64 s[34:35], s[0:1], s2 offset:0x0 scale_offset
	s_add_nc_u64 s[36:37], s[36:37], s[18:19]
	s_clause 0x1
	flat_load_b64 v[18:19], v[14:15]
	flat_load_b64 v[20:21], v[16:17]
	s_wait_xcnt 0x1
	v_lshl_add_u64 v[14:15], v[2:3], 3, s[36:37]
	s_delay_alu instid0(VALU_DEP_1) | instskip(NEXT) | instid1(VALU_DEP_1)
	v_add_nc_u64_e32 v[14:15], v[14:15], v[0:1]
	v_lshl_add_u64 v[24:25], s[6:7], 3, v[14:15]
	s_wait_kmcnt 0x0
	s_add_nc_u64 s[34:35], s[34:35], s[12:13]
	s_delay_alu instid0(SALU_CYCLE_1)
	s_add_nc_u64 s[34:35], s[34:35], s[26:27]
	s_wait_xcnt 0x0
	v_lshl_add_u64 v[16:17], v[4:5], 3, s[34:35]
	v_lshl_add_u64 v[22:23], v[10:11], 3, s[34:35]
	s_clause 0x1
	flat_load_b64 v[26:27], v[16:17]
	flat_load_b64 v[28:29], v[22:23]
	s_clause 0x3
	flat_load_b64 v[30:31], v[14:15]
	flat_load_b64 v[32:33], v[24:25]
	flat_load_b64 v[34:35], v[24:25] offset:256
	flat_load_b64 v[36:37], v[14:15] offset:256
	s_wait_loadcnt_dscnt 0x707
	s_wait_xcnt 0x5
	v_mul_f64_e32 v[16:17], v[12:13], v[18:19]
	s_wait_loadcnt_dscnt 0x606
	v_mul_f64_e32 v[12:13], v[12:13], v[20:21]
	s_wait_loadcnt_dscnt 0x303
	s_delay_alu instid0(VALU_DEP_2) | instskip(SKIP_3) | instid1(VALU_DEP_3)
	v_fmac_f64_e32 v[30:31], v[16:17], v[26:27]
	s_wait_loadcnt_dscnt 0x202
	v_fmac_f64_e32 v[32:33], v[16:17], v[28:29]
	s_wait_loadcnt_dscnt 0x0
	v_fmac_f64_e32 v[36:37], v[12:13], v[26:27]
	v_fmac_f64_e32 v[34:35], v[12:13], v[28:29]
	s_clause 0x3
	flat_store_b64 v[14:15], v[30:31]
	flat_store_b64 v[24:25], v[32:33]
	flat_store_b64 v[14:15], v[36:37] offset:256
	flat_store_b64 v[24:25], v[34:35] offset:256
	s_branch .LBB41_2
.LBB41_7:
	s_endpgm
	.section	.rodata,"a",@progbits
	.p2align	6, 0x0
	.amdhsa_kernel _ZL34rocblas_ger_double_buffered_kernelILb0ELi64ELi16ELi2Ed24rocblas_internal_val_ptrIdEPKPKdPKPdEvbiiT4_lT5_lllSA_lllT6_lmli
		.amdhsa_group_segment_fixed_size 0
		.amdhsa_private_segment_fixed_size 0
		.amdhsa_kernarg_size 132
		.amdhsa_user_sgpr_count 2
		.amdhsa_user_sgpr_dispatch_ptr 0
		.amdhsa_user_sgpr_queue_ptr 0
		.amdhsa_user_sgpr_kernarg_segment_ptr 1
		.amdhsa_user_sgpr_dispatch_id 0
		.amdhsa_user_sgpr_kernarg_preload_length 0
		.amdhsa_user_sgpr_kernarg_preload_offset 0
		.amdhsa_user_sgpr_private_segment_size 0
		.amdhsa_wavefront_size32 1
		.amdhsa_uses_dynamic_stack 0
		.amdhsa_enable_private_segment 0
		.amdhsa_system_sgpr_workgroup_id_x 1
		.amdhsa_system_sgpr_workgroup_id_y 1
		.amdhsa_system_sgpr_workgroup_id_z 1
		.amdhsa_system_sgpr_workgroup_info 0
		.amdhsa_system_vgpr_workitem_id 1
		.amdhsa_next_free_vgpr 38
		.amdhsa_next_free_sgpr 38
		.amdhsa_named_barrier_count 0
		.amdhsa_reserve_vcc 1
		.amdhsa_float_round_mode_32 0
		.amdhsa_float_round_mode_16_64 0
		.amdhsa_float_denorm_mode_32 3
		.amdhsa_float_denorm_mode_16_64 3
		.amdhsa_fp16_overflow 0
		.amdhsa_memory_ordered 1
		.amdhsa_forward_progress 1
		.amdhsa_inst_pref_size 7
		.amdhsa_round_robin_scheduling 0
		.amdhsa_exception_fp_ieee_invalid_op 0
		.amdhsa_exception_fp_denorm_src 0
		.amdhsa_exception_fp_ieee_div_zero 0
		.amdhsa_exception_fp_ieee_overflow 0
		.amdhsa_exception_fp_ieee_underflow 0
		.amdhsa_exception_fp_ieee_inexact 0
		.amdhsa_exception_int_div_zero 0
	.end_amdhsa_kernel
	.section	.text._ZL34rocblas_ger_double_buffered_kernelILb0ELi64ELi16ELi2Ed24rocblas_internal_val_ptrIdEPKPKdPKPdEvbiiT4_lT5_lllSA_lllT6_lmli,"axG",@progbits,_ZL34rocblas_ger_double_buffered_kernelILb0ELi64ELi16ELi2Ed24rocblas_internal_val_ptrIdEPKPKdPKPdEvbiiT4_lT5_lllSA_lllT6_lmli,comdat
.Lfunc_end41:
	.size	_ZL34rocblas_ger_double_buffered_kernelILb0ELi64ELi16ELi2Ed24rocblas_internal_val_ptrIdEPKPKdPKPdEvbiiT4_lT5_lllSA_lllT6_lmli, .Lfunc_end41-_ZL34rocblas_ger_double_buffered_kernelILb0ELi64ELi16ELi2Ed24rocblas_internal_val_ptrIdEPKPKdPKPdEvbiiT4_lT5_lllSA_lllT6_lmli
                                        ; -- End function
	.set _ZL34rocblas_ger_double_buffered_kernelILb0ELi64ELi16ELi2Ed24rocblas_internal_val_ptrIdEPKPKdPKPdEvbiiT4_lT5_lllSA_lllT6_lmli.num_vgpr, 38
	.set _ZL34rocblas_ger_double_buffered_kernelILb0ELi64ELi16ELi2Ed24rocblas_internal_val_ptrIdEPKPKdPKPdEvbiiT4_lT5_lllSA_lllT6_lmli.num_agpr, 0
	.set _ZL34rocblas_ger_double_buffered_kernelILb0ELi64ELi16ELi2Ed24rocblas_internal_val_ptrIdEPKPKdPKPdEvbiiT4_lT5_lllSA_lllT6_lmli.numbered_sgpr, 38
	.set _ZL34rocblas_ger_double_buffered_kernelILb0ELi64ELi16ELi2Ed24rocblas_internal_val_ptrIdEPKPKdPKPdEvbiiT4_lT5_lllSA_lllT6_lmli.num_named_barrier, 0
	.set _ZL34rocblas_ger_double_buffered_kernelILb0ELi64ELi16ELi2Ed24rocblas_internal_val_ptrIdEPKPKdPKPdEvbiiT4_lT5_lllSA_lllT6_lmli.private_seg_size, 0
	.set _ZL34rocblas_ger_double_buffered_kernelILb0ELi64ELi16ELi2Ed24rocblas_internal_val_ptrIdEPKPKdPKPdEvbiiT4_lT5_lllSA_lllT6_lmli.uses_vcc, 1
	.set _ZL34rocblas_ger_double_buffered_kernelILb0ELi64ELi16ELi2Ed24rocblas_internal_val_ptrIdEPKPKdPKPdEvbiiT4_lT5_lllSA_lllT6_lmli.uses_flat_scratch, 1
	.set _ZL34rocblas_ger_double_buffered_kernelILb0ELi64ELi16ELi2Ed24rocblas_internal_val_ptrIdEPKPKdPKPdEvbiiT4_lT5_lllSA_lllT6_lmli.has_dyn_sized_stack, 0
	.set _ZL34rocblas_ger_double_buffered_kernelILb0ELi64ELi16ELi2Ed24rocblas_internal_val_ptrIdEPKPKdPKPdEvbiiT4_lT5_lllSA_lllT6_lmli.has_recursion, 0
	.set _ZL34rocblas_ger_double_buffered_kernelILb0ELi64ELi16ELi2Ed24rocblas_internal_val_ptrIdEPKPKdPKPdEvbiiT4_lT5_lllSA_lllT6_lmli.has_indirect_call, 0
	.section	.AMDGPU.csdata,"",@progbits
; Kernel info:
; codeLenInByte = 832
; TotalNumSgprs: 40
; NumVgprs: 38
; ScratchSize: 0
; MemoryBound: 0
; FloatMode: 240
; IeeeMode: 1
; LDSByteSize: 0 bytes/workgroup (compile time only)
; SGPRBlocks: 0
; VGPRBlocks: 2
; NumSGPRsForWavesPerEU: 40
; NumVGPRsForWavesPerEU: 38
; NamedBarCnt: 0
; Occupancy: 16
; WaveLimiterHint : 1
; COMPUTE_PGM_RSRC2:SCRATCH_EN: 0
; COMPUTE_PGM_RSRC2:USER_SGPR: 2
; COMPUTE_PGM_RSRC2:TRAP_HANDLER: 0
; COMPUTE_PGM_RSRC2:TGID_X_EN: 1
; COMPUTE_PGM_RSRC2:TGID_Y_EN: 1
; COMPUTE_PGM_RSRC2:TGID_Z_EN: 1
; COMPUTE_PGM_RSRC2:TIDIG_COMP_CNT: 1
	.section	.text._ZL26rocblas_sger_gfx942_kernelILi256EdPKdPKS1_PKPdEviiT1_lT2_lllS8_lllT3_lll,"axG",@progbits,_ZL26rocblas_sger_gfx942_kernelILi256EdPKdPKS1_PKPdEviiT1_lT2_lllS8_lllT3_lll,comdat
	.globl	_ZL26rocblas_sger_gfx942_kernelILi256EdPKdPKS1_PKPdEviiT1_lT2_lllS8_lllT3_lll ; -- Begin function _ZL26rocblas_sger_gfx942_kernelILi256EdPKdPKS1_PKPdEviiT1_lT2_lllS8_lllT3_lll
	.p2align	8
	.type	_ZL26rocblas_sger_gfx942_kernelILi256EdPKdPKS1_PKPdEviiT1_lT2_lllS8_lllT3_lll,@function
_ZL26rocblas_sger_gfx942_kernelILi256EdPKdPKS1_PKPdEviiT1_lT2_lllS8_lllT3_lll: ; @_ZL26rocblas_sger_gfx942_kernelILi256EdPKdPKS1_PKPdEviiT1_lT2_lllS8_lllT3_lll
; %bb.0:
	s_endpgm
	.section	.rodata,"a",@progbits
	.p2align	6, 0x0
	.amdhsa_kernel _ZL26rocblas_sger_gfx942_kernelILi256EdPKdPKS1_PKPdEviiT1_lT2_lllS8_lllT3_lll
		.amdhsa_group_segment_fixed_size 0
		.amdhsa_private_segment_fixed_size 0
		.amdhsa_kernarg_size 120
		.amdhsa_user_sgpr_count 2
		.amdhsa_user_sgpr_dispatch_ptr 0
		.amdhsa_user_sgpr_queue_ptr 0
		.amdhsa_user_sgpr_kernarg_segment_ptr 1
		.amdhsa_user_sgpr_dispatch_id 0
		.amdhsa_user_sgpr_kernarg_preload_length 0
		.amdhsa_user_sgpr_kernarg_preload_offset 0
		.amdhsa_user_sgpr_private_segment_size 0
		.amdhsa_wavefront_size32 1
		.amdhsa_uses_dynamic_stack 0
		.amdhsa_enable_private_segment 0
		.amdhsa_system_sgpr_workgroup_id_x 1
		.amdhsa_system_sgpr_workgroup_id_y 0
		.amdhsa_system_sgpr_workgroup_id_z 0
		.amdhsa_system_sgpr_workgroup_info 0
		.amdhsa_system_vgpr_workitem_id 0
		.amdhsa_next_free_vgpr 1
		.amdhsa_next_free_sgpr 1
		.amdhsa_named_barrier_count 0
		.amdhsa_reserve_vcc 0
		.amdhsa_float_round_mode_32 0
		.amdhsa_float_round_mode_16_64 0
		.amdhsa_float_denorm_mode_32 3
		.amdhsa_float_denorm_mode_16_64 3
		.amdhsa_fp16_overflow 0
		.amdhsa_memory_ordered 1
		.amdhsa_forward_progress 1
		.amdhsa_inst_pref_size 1
		.amdhsa_round_robin_scheduling 0
		.amdhsa_exception_fp_ieee_invalid_op 0
		.amdhsa_exception_fp_denorm_src 0
		.amdhsa_exception_fp_ieee_div_zero 0
		.amdhsa_exception_fp_ieee_overflow 0
		.amdhsa_exception_fp_ieee_underflow 0
		.amdhsa_exception_fp_ieee_inexact 0
		.amdhsa_exception_int_div_zero 0
	.end_amdhsa_kernel
	.section	.text._ZL26rocblas_sger_gfx942_kernelILi256EdPKdPKS1_PKPdEviiT1_lT2_lllS8_lllT3_lll,"axG",@progbits,_ZL26rocblas_sger_gfx942_kernelILi256EdPKdPKS1_PKPdEviiT1_lT2_lllS8_lllT3_lll,comdat
.Lfunc_end42:
	.size	_ZL26rocblas_sger_gfx942_kernelILi256EdPKdPKS1_PKPdEviiT1_lT2_lllS8_lllT3_lll, .Lfunc_end42-_ZL26rocblas_sger_gfx942_kernelILi256EdPKdPKS1_PKPdEviiT1_lT2_lllS8_lllT3_lll
                                        ; -- End function
	.set _ZL26rocblas_sger_gfx942_kernelILi256EdPKdPKS1_PKPdEviiT1_lT2_lllS8_lllT3_lll.num_vgpr, 0
	.set _ZL26rocblas_sger_gfx942_kernelILi256EdPKdPKS1_PKPdEviiT1_lT2_lllS8_lllT3_lll.num_agpr, 0
	.set _ZL26rocblas_sger_gfx942_kernelILi256EdPKdPKS1_PKPdEviiT1_lT2_lllS8_lllT3_lll.numbered_sgpr, 0
	.set _ZL26rocblas_sger_gfx942_kernelILi256EdPKdPKS1_PKPdEviiT1_lT2_lllS8_lllT3_lll.num_named_barrier, 0
	.set _ZL26rocblas_sger_gfx942_kernelILi256EdPKdPKS1_PKPdEviiT1_lT2_lllS8_lllT3_lll.private_seg_size, 0
	.set _ZL26rocblas_sger_gfx942_kernelILi256EdPKdPKS1_PKPdEviiT1_lT2_lllS8_lllT3_lll.uses_vcc, 0
	.set _ZL26rocblas_sger_gfx942_kernelILi256EdPKdPKS1_PKPdEviiT1_lT2_lllS8_lllT3_lll.uses_flat_scratch, 0
	.set _ZL26rocblas_sger_gfx942_kernelILi256EdPKdPKS1_PKPdEviiT1_lT2_lllS8_lllT3_lll.has_dyn_sized_stack, 0
	.set _ZL26rocblas_sger_gfx942_kernelILi256EdPKdPKS1_PKPdEviiT1_lT2_lllS8_lllT3_lll.has_recursion, 0
	.set _ZL26rocblas_sger_gfx942_kernelILi256EdPKdPKS1_PKPdEviiT1_lT2_lllS8_lllT3_lll.has_indirect_call, 0
	.section	.AMDGPU.csdata,"",@progbits
; Kernel info:
; codeLenInByte = 4
; TotalNumSgprs: 0
; NumVgprs: 0
; ScratchSize: 0
; MemoryBound: 0
; FloatMode: 240
; IeeeMode: 1
; LDSByteSize: 0 bytes/workgroup (compile time only)
; SGPRBlocks: 0
; VGPRBlocks: 0
; NumSGPRsForWavesPerEU: 1
; NumVGPRsForWavesPerEU: 1
; NamedBarCnt: 0
; Occupancy: 16
; WaveLimiterHint : 0
; COMPUTE_PGM_RSRC2:SCRATCH_EN: 0
; COMPUTE_PGM_RSRC2:USER_SGPR: 2
; COMPUTE_PGM_RSRC2:TRAP_HANDLER: 0
; COMPUTE_PGM_RSRC2:TGID_X_EN: 1
; COMPUTE_PGM_RSRC2:TGID_Y_EN: 0
; COMPUTE_PGM_RSRC2:TGID_Z_EN: 0
; COMPUTE_PGM_RSRC2:TIDIG_COMP_CNT: 0
	.section	.text._ZL26rocblas_sger_gfx942_kernelILi256EddPKPKdPKPdEviiT1_lT2_lllS8_lllT3_lll,"axG",@progbits,_ZL26rocblas_sger_gfx942_kernelILi256EddPKPKdPKPdEviiT1_lT2_lllS8_lllT3_lll,comdat
	.globl	_ZL26rocblas_sger_gfx942_kernelILi256EddPKPKdPKPdEviiT1_lT2_lllS8_lllT3_lll ; -- Begin function _ZL26rocblas_sger_gfx942_kernelILi256EddPKPKdPKPdEviiT1_lT2_lllS8_lllT3_lll
	.p2align	8
	.type	_ZL26rocblas_sger_gfx942_kernelILi256EddPKPKdPKPdEviiT1_lT2_lllS8_lllT3_lll,@function
_ZL26rocblas_sger_gfx942_kernelILi256EddPKPKdPKPdEviiT1_lT2_lllS8_lllT3_lll: ; @_ZL26rocblas_sger_gfx942_kernelILi256EddPKPKdPKPdEviiT1_lT2_lllS8_lllT3_lll
; %bb.0:
	s_endpgm
	.section	.rodata,"a",@progbits
	.p2align	6, 0x0
	.amdhsa_kernel _ZL26rocblas_sger_gfx942_kernelILi256EddPKPKdPKPdEviiT1_lT2_lllS8_lllT3_lll
		.amdhsa_group_segment_fixed_size 0
		.amdhsa_private_segment_fixed_size 0
		.amdhsa_kernarg_size 120
		.amdhsa_user_sgpr_count 2
		.amdhsa_user_sgpr_dispatch_ptr 0
		.amdhsa_user_sgpr_queue_ptr 0
		.amdhsa_user_sgpr_kernarg_segment_ptr 1
		.amdhsa_user_sgpr_dispatch_id 0
		.amdhsa_user_sgpr_kernarg_preload_length 0
		.amdhsa_user_sgpr_kernarg_preload_offset 0
		.amdhsa_user_sgpr_private_segment_size 0
		.amdhsa_wavefront_size32 1
		.amdhsa_uses_dynamic_stack 0
		.amdhsa_enable_private_segment 0
		.amdhsa_system_sgpr_workgroup_id_x 1
		.amdhsa_system_sgpr_workgroup_id_y 0
		.amdhsa_system_sgpr_workgroup_id_z 0
		.amdhsa_system_sgpr_workgroup_info 0
		.amdhsa_system_vgpr_workitem_id 0
		.amdhsa_next_free_vgpr 1
		.amdhsa_next_free_sgpr 1
		.amdhsa_named_barrier_count 0
		.amdhsa_reserve_vcc 0
		.amdhsa_float_round_mode_32 0
		.amdhsa_float_round_mode_16_64 0
		.amdhsa_float_denorm_mode_32 3
		.amdhsa_float_denorm_mode_16_64 3
		.amdhsa_fp16_overflow 0
		.amdhsa_memory_ordered 1
		.amdhsa_forward_progress 1
		.amdhsa_inst_pref_size 1
		.amdhsa_round_robin_scheduling 0
		.amdhsa_exception_fp_ieee_invalid_op 0
		.amdhsa_exception_fp_denorm_src 0
		.amdhsa_exception_fp_ieee_div_zero 0
		.amdhsa_exception_fp_ieee_overflow 0
		.amdhsa_exception_fp_ieee_underflow 0
		.amdhsa_exception_fp_ieee_inexact 0
		.amdhsa_exception_int_div_zero 0
	.end_amdhsa_kernel
	.section	.text._ZL26rocblas_sger_gfx942_kernelILi256EddPKPKdPKPdEviiT1_lT2_lllS8_lllT3_lll,"axG",@progbits,_ZL26rocblas_sger_gfx942_kernelILi256EddPKPKdPKPdEviiT1_lT2_lllS8_lllT3_lll,comdat
.Lfunc_end43:
	.size	_ZL26rocblas_sger_gfx942_kernelILi256EddPKPKdPKPdEviiT1_lT2_lllS8_lllT3_lll, .Lfunc_end43-_ZL26rocblas_sger_gfx942_kernelILi256EddPKPKdPKPdEviiT1_lT2_lllS8_lllT3_lll
                                        ; -- End function
	.set _ZL26rocblas_sger_gfx942_kernelILi256EddPKPKdPKPdEviiT1_lT2_lllS8_lllT3_lll.num_vgpr, 0
	.set _ZL26rocblas_sger_gfx942_kernelILi256EddPKPKdPKPdEviiT1_lT2_lllS8_lllT3_lll.num_agpr, 0
	.set _ZL26rocblas_sger_gfx942_kernelILi256EddPKPKdPKPdEviiT1_lT2_lllS8_lllT3_lll.numbered_sgpr, 0
	.set _ZL26rocblas_sger_gfx942_kernelILi256EddPKPKdPKPdEviiT1_lT2_lllS8_lllT3_lll.num_named_barrier, 0
	.set _ZL26rocblas_sger_gfx942_kernelILi256EddPKPKdPKPdEviiT1_lT2_lllS8_lllT3_lll.private_seg_size, 0
	.set _ZL26rocblas_sger_gfx942_kernelILi256EddPKPKdPKPdEviiT1_lT2_lllS8_lllT3_lll.uses_vcc, 0
	.set _ZL26rocblas_sger_gfx942_kernelILi256EddPKPKdPKPdEviiT1_lT2_lllS8_lllT3_lll.uses_flat_scratch, 0
	.set _ZL26rocblas_sger_gfx942_kernelILi256EddPKPKdPKPdEviiT1_lT2_lllS8_lllT3_lll.has_dyn_sized_stack, 0
	.set _ZL26rocblas_sger_gfx942_kernelILi256EddPKPKdPKPdEviiT1_lT2_lllS8_lllT3_lll.has_recursion, 0
	.set _ZL26rocblas_sger_gfx942_kernelILi256EddPKPKdPKPdEviiT1_lT2_lllS8_lllT3_lll.has_indirect_call, 0
	.section	.AMDGPU.csdata,"",@progbits
; Kernel info:
; codeLenInByte = 4
; TotalNumSgprs: 0
; NumVgprs: 0
; ScratchSize: 0
; MemoryBound: 0
; FloatMode: 240
; IeeeMode: 1
; LDSByteSize: 0 bytes/workgroup (compile time only)
; SGPRBlocks: 0
; VGPRBlocks: 0
; NumSGPRsForWavesPerEU: 1
; NumVGPRsForWavesPerEU: 1
; NamedBarCnt: 0
; Occupancy: 16
; WaveLimiterHint : 0
; COMPUTE_PGM_RSRC2:SCRATCH_EN: 0
; COMPUTE_PGM_RSRC2:USER_SGPR: 2
; COMPUTE_PGM_RSRC2:TRAP_HANDLER: 0
; COMPUTE_PGM_RSRC2:TGID_X_EN: 1
; COMPUTE_PGM_RSRC2:TGID_Y_EN: 0
; COMPUTE_PGM_RSRC2:TGID_Z_EN: 0
; COMPUTE_PGM_RSRC2:TIDIG_COMP_CNT: 0
	.section	.text._ZL19rocblas_sger_kernelILi1024EdPKdPKS1_PKPdEviiT1_lT2_lllS8_lllT3_lmli,"axG",@progbits,_ZL19rocblas_sger_kernelILi1024EdPKdPKS1_PKPdEviiT1_lT2_lllS8_lllT3_lmli,comdat
	.globl	_ZL19rocblas_sger_kernelILi1024EdPKdPKS1_PKPdEviiT1_lT2_lllS8_lllT3_lmli ; -- Begin function _ZL19rocblas_sger_kernelILi1024EdPKdPKS1_PKPdEviiT1_lT2_lllS8_lllT3_lmli
	.p2align	8
	.type	_ZL19rocblas_sger_kernelILi1024EdPKdPKS1_PKPdEviiT1_lT2_lllS8_lllT3_lmli,@function
_ZL19rocblas_sger_kernelILi1024EdPKdPKS1_PKPdEviiT1_lT2_lllS8_lllT3_lmli: ; @_ZL19rocblas_sger_kernelILi1024EdPKdPKS1_PKPdEviiT1_lT2_lllS8_lllT3_lmli
; %bb.0:
	s_load_b32 s24, s[0:1], 0x78
	s_bfe_u32 s2, ttmp6, 0x40014
	s_lshr_b32 s3, ttmp7, 16
	s_add_co_i32 s2, s2, 1
	s_bfe_u32 s4, ttmp6, 0x40008
	s_mul_i32 s2, s3, s2
	s_getreg_b32 s18, hwreg(HW_REG_IB_STS2, 6, 4)
	s_add_co_i32 s4, s4, s2
	s_cmp_eq_u32 s18, 0
	s_cselect_b32 s2, s3, s4
	s_mov_b32 s3, 0
	s_wait_kmcnt 0x0
	s_cmp_ge_u32 s2, s24
	s_cbranch_scc1 .LBB44_8
; %bb.1:
	s_clause 0x7
	s_load_b32 s25, s[0:1], 0x0
	s_load_b128 s[20:23], s[0:1], 0x60
	s_load_b128 s[28:31], s[0:1], 0x40
	s_load_b64 s[12:13], s[0:1], 0x18
	s_load_b64 s[14:15], s[0:1], 0x58
	;; [unrolled: 1-line block ×3, first 2 shown]
	s_load_b128 s[8:11], s[0:1], 0x20
	s_load_b128 s[4:7], s[0:1], 0x8
	s_bfe_u32 s19, ttmp6, 0x4000c
	s_wait_xcnt 0x0
	s_and_b32 s0, ttmp6, 15
	s_add_co_i32 s19, s19, 1
	s_delay_alu instid0(SALU_CYCLE_1) | instskip(NEXT) | instid1(SALU_CYCLE_1)
	s_mul_i32 s1, ttmp9, s19
	s_add_co_i32 s0, s0, s1
	s_cmp_eq_u32 s18, 0
	s_cselect_b32 s26, ttmp9, s0
	s_delay_alu instid0(SALU_CYCLE_1)
	s_ashr_i32 s27, s26, 31
	s_wait_kmcnt 0x0
	v_cmp_gt_i32_e64 s0, s25, v0
	v_mov_b32_e32 v3, 0
	s_mul_u64 s[18:19], s[22:23], s[26:27]
	s_mul_u64 s[22:23], s[30:31], s[26:27]
	s_lshl_b64 s[20:21], s[20:21], 3
	s_delay_alu instid0(VALU_DEP_1) | instskip(SKIP_3) | instid1(VALU_DEP_1)
	v_dual_cndmask_b32 v2, 0, v0, s0 :: v_dual_mov_b32 v1, v3
	s_lshl_b64 s[26:27], s[8:9], 3
	s_lshl_b64 s[8:9], s[10:11], 13
	s_lshl_b64 s[22:23], s[22:23], 3
	v_lshlrev_b32_e32 v2, 3, v2
	v_mul_u64_e32 v[4:5], s[10:11], v[0:1]
	s_lshl_b64 s[10:11], s[28:29], 3
	s_delay_alu instid0(VALU_DEP_1)
	v_lshl_add_u64 v[4:5], v[4:5], 3, s[26:27]
	s_branch .LBB44_4
.LBB44_2:                               ;   in Loop: Header=BB44_4 Depth=1
	s_or_b32 exec_lo, exec_lo, s1
.LBB44_3:                               ;   in Loop: Header=BB44_4 Depth=1
	s_add_co_i32 s2, s2, 0x10000
	s_delay_alu instid0(SALU_CYCLE_1)
	s_cmp_lt_u32 s2, s24
	s_cbranch_scc0 .LBB44_8
.LBB44_4:                               ; =>This Loop Header: Depth=1
                                        ;     Child Loop BB44_7 Depth 2
	s_wait_xcnt 0x0
	s_mul_u64 s[26:27], s[6:7], s[2:3]
	s_delay_alu instid0(SALU_CYCLE_1) | instskip(NEXT) | instid1(SALU_CYCLE_1)
	s_lshl_b64 s[26:27], s[26:27], 3
	s_add_nc_u64 s[26:27], s[4:5], s[26:27]
	global_load_b64 v[6:7], v3, s[26:27]
	s_wait_loadcnt 0x0
	v_cmp_eq_f64_e32 vcc_lo, 0, v[6:7]
	s_cbranch_vccnz .LBB44_3
; %bb.5:                                ;   in Loop: Header=BB44_4 Depth=1
	s_wait_xcnt 0x0
	s_and_saveexec_b32 s1, s0
	s_cbranch_execz .LBB44_2
; %bb.6:                                ;   in Loop: Header=BB44_4 Depth=1
	s_lshl_b64 s[26:27], s[2:3], 3
	v_mov_b32_e32 v1, v0
	s_add_nc_u64 s[28:29], s[16:17], s[26:27]
	s_load_b64 s[28:29], s[28:29], 0x0
	s_wait_kmcnt 0x0
	s_wait_xcnt 0x0
	s_add_nc_u64 s[28:29], s[28:29], s[10:11]
	s_delay_alu instid0(SALU_CYCLE_1)
	s_add_nc_u64 s[28:29], s[28:29], s[22:23]
	flat_load_b64 v[8:9], v3, s[28:29]
	s_wait_xcnt 0x0
	s_add_nc_u64 s[28:29], s[14:15], s[26:27]
	s_add_nc_u64 s[26:27], s[12:13], s[26:27]
	s_load_b64 s[28:29], s[28:29], 0x0
	s_wait_kmcnt 0x0
	s_wait_xcnt 0x0
	s_add_nc_u64 s[28:29], s[28:29], s[20:21]
	s_load_b64 s[26:27], s[26:27], 0x0
	v_add_nc_u64_e32 v[10:11], s[28:29], v[2:3]
	s_delay_alu instid0(VALU_DEP_1)
	v_lshl_add_u64 v[10:11], s[18:19], 3, v[10:11]
	s_wait_loadcnt_dscnt 0x0
	v_mul_f64_e32 v[6:7], v[6:7], v[8:9]
	s_wait_kmcnt 0x0
	v_add_nc_u64_e32 v[8:9], s[26:27], v[4:5]
	s_wait_xcnt 0x0
	s_mov_b32 s26, 0
.LBB44_7:                               ;   Parent Loop BB44_4 Depth=1
                                        ; =>  This Inner Loop Header: Depth=2
	flat_load_b64 v[12:13], v[8:9]
	flat_load_b64 v[14:15], v[10:11]
	v_add_nc_u32_e32 v1, 0x400, v1
	s_wait_xcnt 0x1
	v_add_nc_u64_e32 v[8:9], s[8:9], v[8:9]
	s_delay_alu instid0(VALU_DEP_2)
	v_cmp_le_i32_e32 vcc_lo, s25, v1
	s_or_b32 s26, vcc_lo, s26
	s_wait_loadcnt_dscnt 0x0
	v_fmac_f64_e32 v[14:15], v[6:7], v[12:13]
	flat_store_b64 v[10:11], v[14:15]
	s_wait_xcnt 0x0
	v_add_nc_u64_e32 v[10:11], 0x2000, v[10:11]
	s_and_not1_b32 exec_lo, exec_lo, s26
	s_cbranch_execnz .LBB44_7
	s_branch .LBB44_2
.LBB44_8:
	s_endpgm
	.section	.rodata,"a",@progbits
	.p2align	6, 0x0
	.amdhsa_kernel _ZL19rocblas_sger_kernelILi1024EdPKdPKS1_PKPdEviiT1_lT2_lllS8_lllT3_lmli
		.amdhsa_group_segment_fixed_size 0
		.amdhsa_private_segment_fixed_size 0
		.amdhsa_kernarg_size 124
		.amdhsa_user_sgpr_count 2
		.amdhsa_user_sgpr_dispatch_ptr 0
		.amdhsa_user_sgpr_queue_ptr 0
		.amdhsa_user_sgpr_kernarg_segment_ptr 1
		.amdhsa_user_sgpr_dispatch_id 0
		.amdhsa_user_sgpr_kernarg_preload_length 0
		.amdhsa_user_sgpr_kernarg_preload_offset 0
		.amdhsa_user_sgpr_private_segment_size 0
		.amdhsa_wavefront_size32 1
		.amdhsa_uses_dynamic_stack 0
		.amdhsa_enable_private_segment 0
		.amdhsa_system_sgpr_workgroup_id_x 1
		.amdhsa_system_sgpr_workgroup_id_y 0
		.amdhsa_system_sgpr_workgroup_id_z 1
		.amdhsa_system_sgpr_workgroup_info 0
		.amdhsa_system_vgpr_workitem_id 0
		.amdhsa_next_free_vgpr 16
		.amdhsa_next_free_sgpr 32
		.amdhsa_named_barrier_count 0
		.amdhsa_reserve_vcc 1
		.amdhsa_float_round_mode_32 0
		.amdhsa_float_round_mode_16_64 0
		.amdhsa_float_denorm_mode_32 3
		.amdhsa_float_denorm_mode_16_64 3
		.amdhsa_fp16_overflow 0
		.amdhsa_memory_ordered 1
		.amdhsa_forward_progress 1
		.amdhsa_inst_pref_size 5
		.amdhsa_round_robin_scheduling 0
		.amdhsa_exception_fp_ieee_invalid_op 0
		.amdhsa_exception_fp_denorm_src 0
		.amdhsa_exception_fp_ieee_div_zero 0
		.amdhsa_exception_fp_ieee_overflow 0
		.amdhsa_exception_fp_ieee_underflow 0
		.amdhsa_exception_fp_ieee_inexact 0
		.amdhsa_exception_int_div_zero 0
	.end_amdhsa_kernel
	.section	.text._ZL19rocblas_sger_kernelILi1024EdPKdPKS1_PKPdEviiT1_lT2_lllS8_lllT3_lmli,"axG",@progbits,_ZL19rocblas_sger_kernelILi1024EdPKdPKS1_PKPdEviiT1_lT2_lllS8_lllT3_lmli,comdat
.Lfunc_end44:
	.size	_ZL19rocblas_sger_kernelILi1024EdPKdPKS1_PKPdEviiT1_lT2_lllS8_lllT3_lmli, .Lfunc_end44-_ZL19rocblas_sger_kernelILi1024EdPKdPKS1_PKPdEviiT1_lT2_lllS8_lllT3_lmli
                                        ; -- End function
	.set _ZL19rocblas_sger_kernelILi1024EdPKdPKS1_PKPdEviiT1_lT2_lllS8_lllT3_lmli.num_vgpr, 16
	.set _ZL19rocblas_sger_kernelILi1024EdPKdPKS1_PKPdEviiT1_lT2_lllS8_lllT3_lmli.num_agpr, 0
	.set _ZL19rocblas_sger_kernelILi1024EdPKdPKS1_PKPdEviiT1_lT2_lllS8_lllT3_lmli.numbered_sgpr, 32
	.set _ZL19rocblas_sger_kernelILi1024EdPKdPKS1_PKPdEviiT1_lT2_lllS8_lllT3_lmli.num_named_barrier, 0
	.set _ZL19rocblas_sger_kernelILi1024EdPKdPKS1_PKPdEviiT1_lT2_lllS8_lllT3_lmli.private_seg_size, 0
	.set _ZL19rocblas_sger_kernelILi1024EdPKdPKS1_PKPdEviiT1_lT2_lllS8_lllT3_lmli.uses_vcc, 1
	.set _ZL19rocblas_sger_kernelILi1024EdPKdPKS1_PKPdEviiT1_lT2_lllS8_lllT3_lmli.uses_flat_scratch, 0
	.set _ZL19rocblas_sger_kernelILi1024EdPKdPKS1_PKPdEviiT1_lT2_lllS8_lllT3_lmli.has_dyn_sized_stack, 0
	.set _ZL19rocblas_sger_kernelILi1024EdPKdPKS1_PKPdEviiT1_lT2_lllS8_lllT3_lmli.has_recursion, 0
	.set _ZL19rocblas_sger_kernelILi1024EdPKdPKS1_PKPdEviiT1_lT2_lllS8_lllT3_lmli.has_indirect_call, 0
	.section	.AMDGPU.csdata,"",@progbits
; Kernel info:
; codeLenInByte = 580
; TotalNumSgprs: 34
; NumVgprs: 16
; ScratchSize: 0
; MemoryBound: 0
; FloatMode: 240
; IeeeMode: 1
; LDSByteSize: 0 bytes/workgroup (compile time only)
; SGPRBlocks: 0
; VGPRBlocks: 0
; NumSGPRsForWavesPerEU: 34
; NumVGPRsForWavesPerEU: 16
; NamedBarCnt: 0
; Occupancy: 16
; WaveLimiterHint : 1
; COMPUTE_PGM_RSRC2:SCRATCH_EN: 0
; COMPUTE_PGM_RSRC2:USER_SGPR: 2
; COMPUTE_PGM_RSRC2:TRAP_HANDLER: 0
; COMPUTE_PGM_RSRC2:TGID_X_EN: 1
; COMPUTE_PGM_RSRC2:TGID_Y_EN: 0
; COMPUTE_PGM_RSRC2:TGID_Z_EN: 1
; COMPUTE_PGM_RSRC2:TIDIG_COMP_CNT: 0
	.section	.text._ZL19rocblas_sger_kernelILi1024EddPKPKdPKPdEviiT1_lT2_lllS8_lllT3_lmli,"axG",@progbits,_ZL19rocblas_sger_kernelILi1024EddPKPKdPKPdEviiT1_lT2_lllS8_lllT3_lmli,comdat
	.globl	_ZL19rocblas_sger_kernelILi1024EddPKPKdPKPdEviiT1_lT2_lllS8_lllT3_lmli ; -- Begin function _ZL19rocblas_sger_kernelILi1024EddPKPKdPKPdEviiT1_lT2_lllS8_lllT3_lmli
	.p2align	8
	.type	_ZL19rocblas_sger_kernelILi1024EddPKPKdPKPdEviiT1_lT2_lllS8_lllT3_lmli,@function
_ZL19rocblas_sger_kernelILi1024EddPKPKdPKPdEviiT1_lT2_lllS8_lllT3_lmli: ; @_ZL19rocblas_sger_kernelILi1024EddPKPKdPKPdEviiT1_lT2_lllS8_lllT3_lmli
; %bb.0:
	s_load_b32 s20, s[0:1], 0x78
	s_bfe_u32 s2, ttmp6, 0x40014
	s_lshr_b32 s3, ttmp7, 16
	s_add_co_i32 s2, s2, 1
	s_bfe_u32 s4, ttmp6, 0x40008
	s_mul_i32 s2, s3, s2
	s_getreg_b32 s14, hwreg(HW_REG_IB_STS2, 6, 4)
	s_add_co_i32 s4, s4, s2
	s_cmp_eq_u32 s14, 0
	s_cselect_b32 s21, s3, s4
	s_wait_kmcnt 0x0
	s_cmp_ge_u32 s21, s20
	s_cbranch_scc1 .LBB45_8
; %bb.1:
	s_clause 0x6
	s_load_b32 s22, s[0:1], 0x0
	s_load_b128 s[16:19], s[0:1], 0x60
	s_load_b128 s[24:27], s[0:1], 0x40
	s_load_b64 s[2:3], s[0:1], 0x8
	s_load_b64 s[8:9], s[0:1], 0x38
	s_load_b128 s[4:7], s[0:1], 0x20
	s_load_b64 s[10:11], s[0:1], 0x18
	s_bfe_u32 s12, ttmp6, 0x4000c
	s_and_b32 s15, ttmp6, 15
	s_add_co_i32 s12, s12, 1
	s_delay_alu instid0(SALU_CYCLE_1) | instskip(SKIP_4) | instid1(SALU_CYCLE_1)
	s_mul_i32 s23, ttmp9, s12
	s_load_b64 s[12:13], s[0:1], 0x58
	s_add_co_i32 s15, s15, s23
	s_cmp_eq_u32 s14, 0
	s_cselect_b32 s28, ttmp9, s15
	s_ashr_i32 s29, s28, 31
	s_wait_kmcnt 0x0
	v_cmp_gt_i32_e64 s0, s22, v0
	v_mov_b32_e32 v3, 0
	s_mul_u64 s[14:15], s[18:19], s[28:29]
	v_cmp_neq_f64_e64 s1, s[2:3], 0
	s_mul_u64 s[18:19], s[26:27], s[28:29]
	v_dual_cndmask_b32 v2, 0, v0, s0 :: v_dual_mov_b32 v1, v3
	s_lshl_b64 s[26:27], s[4:5], 3
	s_lshl_b64 s[4:5], s[6:7], 13
	;; [unrolled: 1-line block ×3, first 2 shown]
	s_delay_alu instid0(VALU_DEP_1) | instskip(SKIP_3) | instid1(VALU_DEP_1)
	v_lshlrev_b32_e32 v2, 3, v2
	v_mul_u64_e32 v[4:5], s[6:7], v[0:1]
	s_lshl_b64 s[6:7], s[24:25], 3
	s_lshl_b64 s[18:19], s[18:19], 3
	v_lshl_add_u64 v[4:5], v[4:5], 3, s[26:27]
	s_branch .LBB45_4
.LBB45_2:                               ;   in Loop: Header=BB45_4 Depth=1
	s_or_b32 exec_lo, exec_lo, s23
.LBB45_3:                               ;   in Loop: Header=BB45_4 Depth=1
	s_add_co_i32 s21, s21, 0x10000
	s_delay_alu instid0(SALU_CYCLE_1)
	s_cmp_lt_u32 s21, s20
	s_cbranch_scc0 .LBB45_8
.LBB45_4:                               ; =>This Loop Header: Depth=1
                                        ;     Child Loop BB45_7 Depth 2
	s_and_not1_b32 vcc_lo, exec_lo, s1
	s_cbranch_vccnz .LBB45_3
; %bb.5:                                ;   in Loop: Header=BB45_4 Depth=1
	s_and_saveexec_b32 s23, s0
	s_cbranch_execz .LBB45_2
; %bb.6:                                ;   in Loop: Header=BB45_4 Depth=1
	s_load_b64 s[24:25], s[8:9], s21 offset:0x0 scale_offset
	s_load_b64 s[26:27], s[10:11], s21 offset:0x0 scale_offset
	v_mov_b32_e32 v1, v0
	s_wait_kmcnt 0x0
	s_add_nc_u64 s[24:25], s[24:25], s[6:7]
	v_add_nc_u64_e32 v[8:9], s[26:27], v[4:5]
	s_add_nc_u64 s[24:25], s[24:25], s[18:19]
	flat_load_b64 v[6:7], v3, s[24:25]
	s_wait_xcnt 0x0
	s_load_b64 s[24:25], s[12:13], s21 offset:0x0 scale_offset
	s_wait_kmcnt 0x0
	s_add_nc_u64 s[24:25], s[24:25], s[16:17]
	s_delay_alu instid0(SALU_CYCLE_1) | instskip(SKIP_1) | instid1(VALU_DEP_1)
	v_add_nc_u64_e32 v[10:11], s[24:25], v[2:3]
	s_mov_b32 s24, 0
	v_lshl_add_u64 v[10:11], s[14:15], 3, v[10:11]
	s_wait_loadcnt_dscnt 0x0
	v_mul_f64_e32 v[6:7], s[2:3], v[6:7]
.LBB45_7:                               ;   Parent Loop BB45_4 Depth=1
                                        ; =>  This Inner Loop Header: Depth=2
	flat_load_b64 v[12:13], v[8:9]
	flat_load_b64 v[14:15], v[10:11]
	v_add_nc_u32_e32 v1, 0x400, v1
	s_wait_xcnt 0x1
	v_add_nc_u64_e32 v[8:9], s[4:5], v[8:9]
	s_delay_alu instid0(VALU_DEP_2)
	v_cmp_le_i32_e32 vcc_lo, s22, v1
	s_or_b32 s24, vcc_lo, s24
	s_wait_loadcnt_dscnt 0x0
	v_fmac_f64_e32 v[14:15], v[6:7], v[12:13]
	flat_store_b64 v[10:11], v[14:15]
	s_wait_xcnt 0x0
	v_add_nc_u64_e32 v[10:11], 0x2000, v[10:11]
	s_and_not1_b32 exec_lo, exec_lo, s24
	s_cbranch_execnz .LBB45_7
	s_branch .LBB45_2
.LBB45_8:
	s_endpgm
	.section	.rodata,"a",@progbits
	.p2align	6, 0x0
	.amdhsa_kernel _ZL19rocblas_sger_kernelILi1024EddPKPKdPKPdEviiT1_lT2_lllS8_lllT3_lmli
		.amdhsa_group_segment_fixed_size 0
		.amdhsa_private_segment_fixed_size 0
		.amdhsa_kernarg_size 124
		.amdhsa_user_sgpr_count 2
		.amdhsa_user_sgpr_dispatch_ptr 0
		.amdhsa_user_sgpr_queue_ptr 0
		.amdhsa_user_sgpr_kernarg_segment_ptr 1
		.amdhsa_user_sgpr_dispatch_id 0
		.amdhsa_user_sgpr_kernarg_preload_length 0
		.amdhsa_user_sgpr_kernarg_preload_offset 0
		.amdhsa_user_sgpr_private_segment_size 0
		.amdhsa_wavefront_size32 1
		.amdhsa_uses_dynamic_stack 0
		.amdhsa_enable_private_segment 0
		.amdhsa_system_sgpr_workgroup_id_x 1
		.amdhsa_system_sgpr_workgroup_id_y 0
		.amdhsa_system_sgpr_workgroup_id_z 1
		.amdhsa_system_sgpr_workgroup_info 0
		.amdhsa_system_vgpr_workitem_id 0
		.amdhsa_next_free_vgpr 16
		.amdhsa_next_free_sgpr 30
		.amdhsa_named_barrier_count 0
		.amdhsa_reserve_vcc 1
		.amdhsa_float_round_mode_32 0
		.amdhsa_float_round_mode_16_64 0
		.amdhsa_float_denorm_mode_32 3
		.amdhsa_float_denorm_mode_16_64 3
		.amdhsa_fp16_overflow 0
		.amdhsa_memory_ordered 1
		.amdhsa_forward_progress 1
		.amdhsa_inst_pref_size 4
		.amdhsa_round_robin_scheduling 0
		.amdhsa_exception_fp_ieee_invalid_op 0
		.amdhsa_exception_fp_denorm_src 0
		.amdhsa_exception_fp_ieee_div_zero 0
		.amdhsa_exception_fp_ieee_overflow 0
		.amdhsa_exception_fp_ieee_underflow 0
		.amdhsa_exception_fp_ieee_inexact 0
		.amdhsa_exception_int_div_zero 0
	.end_amdhsa_kernel
	.section	.text._ZL19rocblas_sger_kernelILi1024EddPKPKdPKPdEviiT1_lT2_lllS8_lllT3_lmli,"axG",@progbits,_ZL19rocblas_sger_kernelILi1024EddPKPKdPKPdEviiT1_lT2_lllS8_lllT3_lmli,comdat
.Lfunc_end45:
	.size	_ZL19rocblas_sger_kernelILi1024EddPKPKdPKPdEviiT1_lT2_lllS8_lllT3_lmli, .Lfunc_end45-_ZL19rocblas_sger_kernelILi1024EddPKPKdPKPdEviiT1_lT2_lllS8_lllT3_lmli
                                        ; -- End function
	.set _ZL19rocblas_sger_kernelILi1024EddPKPKdPKPdEviiT1_lT2_lllS8_lllT3_lmli.num_vgpr, 16
	.set _ZL19rocblas_sger_kernelILi1024EddPKPKdPKPdEviiT1_lT2_lllS8_lllT3_lmli.num_agpr, 0
	.set _ZL19rocblas_sger_kernelILi1024EddPKPKdPKPdEviiT1_lT2_lllS8_lllT3_lmli.numbered_sgpr, 30
	.set _ZL19rocblas_sger_kernelILi1024EddPKPKdPKPdEviiT1_lT2_lllS8_lllT3_lmli.num_named_barrier, 0
	.set _ZL19rocblas_sger_kernelILi1024EddPKPKdPKPdEviiT1_lT2_lllS8_lllT3_lmli.private_seg_size, 0
	.set _ZL19rocblas_sger_kernelILi1024EddPKPKdPKPdEviiT1_lT2_lllS8_lllT3_lmli.uses_vcc, 1
	.set _ZL19rocblas_sger_kernelILi1024EddPKPKdPKPdEviiT1_lT2_lllS8_lllT3_lmli.uses_flat_scratch, 0
	.set _ZL19rocblas_sger_kernelILi1024EddPKPKdPKPdEviiT1_lT2_lllS8_lllT3_lmli.has_dyn_sized_stack, 0
	.set _ZL19rocblas_sger_kernelILi1024EddPKPKdPKPdEviiT1_lT2_lllS8_lllT3_lmli.has_recursion, 0
	.set _ZL19rocblas_sger_kernelILi1024EddPKPKdPKPdEviiT1_lT2_lllS8_lllT3_lmli.has_indirect_call, 0
	.section	.AMDGPU.csdata,"",@progbits
; Kernel info:
; codeLenInByte = 496
; TotalNumSgprs: 32
; NumVgprs: 16
; ScratchSize: 0
; MemoryBound: 0
; FloatMode: 240
; IeeeMode: 1
; LDSByteSize: 0 bytes/workgroup (compile time only)
; SGPRBlocks: 0
; VGPRBlocks: 0
; NumSGPRsForWavesPerEU: 32
; NumVGPRsForWavesPerEU: 16
; NamedBarCnt: 0
; Occupancy: 16
; WaveLimiterHint : 1
; COMPUTE_PGM_RSRC2:SCRATCH_EN: 0
; COMPUTE_PGM_RSRC2:USER_SGPR: 2
; COMPUTE_PGM_RSRC2:TRAP_HANDLER: 0
; COMPUTE_PGM_RSRC2:TGID_X_EN: 1
; COMPUTE_PGM_RSRC2:TGID_Y_EN: 0
; COMPUTE_PGM_RSRC2:TGID_Z_EN: 1
; COMPUTE_PGM_RSRC2:TIDIG_COMP_CNT: 0
	.section	.text._ZL18rocblas_ger_kernelILi32ELi32ELi2ELb0EdPKdPKS1_PKPdEviiT4_lT5_lllS8_lllT6_lmli,"axG",@progbits,_ZL18rocblas_ger_kernelILi32ELi32ELi2ELb0EdPKdPKS1_PKPdEviiT4_lT5_lllS8_lllT6_lmli,comdat
	.globl	_ZL18rocblas_ger_kernelILi32ELi32ELi2ELb0EdPKdPKS1_PKPdEviiT4_lT5_lllS8_lllT6_lmli ; -- Begin function _ZL18rocblas_ger_kernelILi32ELi32ELi2ELb0EdPKdPKS1_PKPdEviiT4_lT5_lllS8_lllT6_lmli
	.p2align	8
	.type	_ZL18rocblas_ger_kernelILi32ELi32ELi2ELb0EdPKdPKS1_PKPdEviiT4_lT5_lllS8_lllT6_lmli,@function
_ZL18rocblas_ger_kernelILi32ELi32ELi2ELb0EdPKdPKS1_PKPdEviiT4_lT5_lllS8_lllT6_lmli: ; @_ZL18rocblas_ger_kernelILi32ELi32ELi2ELb0EdPKdPKS1_PKPdEviiT4_lT5_lllS8_lllT6_lmli
; %bb.0:
	s_load_b32 s30, s[0:1], 0x78
	s_bfe_u32 s2, ttmp6, 0x40014
	s_lshr_b32 s3, ttmp7, 16
	s_add_co_i32 s2, s2, 1
	s_bfe_u32 s5, ttmp6, 0x40008
	s_mul_i32 s4, s3, s2
	s_getreg_b32 s2, hwreg(HW_REG_IB_STS2, 6, 4)
	s_add_co_i32 s5, s5, s4
	s_cmp_eq_u32 s2, 0
	s_mov_b32 s7, 0
	s_cselect_b32 s6, s3, s5
	s_wait_kmcnt 0x0
	s_cmp_ge_u32 s6, s30
	s_cbranch_scc1 .LBB46_18
; %bb.1:
	s_clause 0x1
	s_load_b64 s[4:5], s[0:1], 0x0
	s_load_b128 s[8:11], s[0:1], 0x8
	s_bfe_u32 s14, ttmp6, 0x4000c
	s_and_b32 s13, ttmp6, 15
	s_add_co_i32 s14, s14, 1
	v_bfe_u32 v16, v0, 10, 10
	s_mul_i32 s14, ttmp9, s14
	s_load_b128 s[20:23], s[0:1], 0x60
	s_add_co_i32 s16, s13, s14
	v_and_b32_e32 v18, 0x3ff, v0
	v_mov_b32_e32 v3, 0
	s_wait_kmcnt 0x0
	s_add_co_i32 s3, s4, -1
	s_delay_alu instid0(SALU_CYCLE_1) | instskip(NEXT) | instid1(SALU_CYCLE_1)
	s_ashr_i32 s12, s3, 31
	s_lshr_b32 s12, s12, 27
	s_delay_alu instid0(SALU_CYCLE_1) | instskip(NEXT) | instid1(SALU_CYCLE_1)
	s_add_co_i32 s3, s3, s12
	s_ashr_i32 s3, s3, 5
	s_delay_alu instid0(SALU_CYCLE_1) | instskip(SKIP_2) | instid1(SALU_CYCLE_3)
	s_add_co_i32 s24, s3, 1
	s_not_b32 s3, s3
	s_cvt_f32_u32 s12, s24
	v_rcp_iflag_f32_e32 v1, s12
	v_nop
	s_delay_alu instid0(TRANS32_DEP_1) | instskip(SKIP_2) | instid1(SALU_CYCLE_3)
	v_readfirstlane_b32 s12, v1
	v_lshlrev_b32_e32 v1, 1, v16
	s_mul_f32 s12, s12, 0x4f7ffffe
	s_cvt_u32_f32 s12, s12
	s_delay_alu instid0(SALU_CYCLE_3) | instskip(NEXT) | instid1(SALU_CYCLE_1)
	s_mul_i32 s3, s3, s12
	s_mul_hi_u32 s3, s12, s3
	s_delay_alu instid0(SALU_CYCLE_1)
	s_add_co_i32 s3, s12, s3
	s_cmp_eq_u32 s2, 0
	s_load_b128 s[12:15], s[0:1], 0x20
	s_cselect_b32 s2, ttmp9, s16
	s_load_b128 s[16:19], s[0:1], 0x40
	s_mul_hi_u32 s3, s2, s3
	s_delay_alu instid0(SALU_CYCLE_1) | instskip(SKIP_2) | instid1(SALU_CYCLE_1)
	s_mul_i32 s25, s3, s24
	s_add_co_i32 s26, s3, 1
	s_sub_co_i32 s25, s2, s25
	s_sub_co_i32 s27, s25, s24
	s_cmp_ge_u32 s25, s24
	s_cselect_b32 s3, s26, s3
	s_cselect_b32 s25, s27, s25
	s_add_co_i32 s26, s3, 1
	s_cmp_ge_u32 s25, s24
	s_cselect_b32 s3, s26, s3
	s_lshl_b64 s[20:21], s[20:21], 3
	v_lshl_add_u32 v12, s3, 6, v1
	s_mul_i32 s24, s3, s24
	s_wait_kmcnt 0x0
	s_lshl_b64 s[12:13], s[12:13], 3
	s_sub_co_i32 s2, s2, s24
	s_lshl_b64 s[16:17], s[16:17], 3
	v_lshl_add_u32 v0, s2, 5, v18
	v_dual_ashrrev_i32 v13, 31, v12 :: v_dual_bitop2_b32 v14, 1, v12 bitop3:0x54
	v_or_b32_e32 v2, v12, v18
	v_cmp_gt_u32_e64 s2, 2, v18
	s_delay_alu instid0(VALU_DEP_3) | instskip(NEXT) | instid1(VALU_DEP_4)
	v_dual_ashrrev_i32 v1, 31, v0 :: v_dual_ashrrev_i32 v15, 31, v14
	v_mul_u64_e32 v[8:9], s[22:23], v[12:13]
	s_delay_alu instid0(VALU_DEP_4) | instskip(SKIP_1) | instid1(VALU_DEP_4)
	v_mul_u64_e32 v[4:5], s[18:19], v[2:3]
	v_lshlrev_b32_e32 v13, 3, v18
	v_mul_u64_e32 v[6:7], s[14:15], v[0:1]
	v_mul_u64_e32 v[10:11], s[22:23], v[14:15]
	s_clause 0x2
	s_load_b64 s[14:15], s[0:1], 0x58
	s_load_b64 s[18:19], s[0:1], 0x18
	;; [unrolled: 1-line block ×3, first 2 shown]
	s_wait_xcnt 0x0
	v_cmp_eq_u32_e64 s0, 0, v16
	v_lshlrev_b32_e32 v16, 4, v16
	v_cmp_gt_i32_e64 s1, s4, v0
	v_add_nc_u32_e32 v17, 0x200, v13
	v_cmp_gt_u32_e64 s3, s5, v2
	v_cmp_gt_i32_e64 s4, s5, v12
	v_add_nc_u32_e32 v2, v16, v13
	v_cmp_gt_i32_e64 s5, s5, v14
	s_branch .LBB46_4
.LBB46_2:                               ;   in Loop: Header=BB46_4 Depth=1
	s_wait_xcnt 0x0
	s_or_b32 exec_lo, exec_lo, s26
.LBB46_3:                               ;   in Loop: Header=BB46_4 Depth=1
	s_add_co_i32 s6, s6, 0x10000
	s_delay_alu instid0(SALU_CYCLE_1)
	s_cmp_lt_u32 s6, s30
	s_cbranch_scc0 .LBB46_18
.LBB46_4:                               ; =>This Inner Loop Header: Depth=1
	s_wait_xcnt 0x0
	s_mul_u64 s[24:25], s[10:11], s[6:7]
	s_delay_alu instid0(SALU_CYCLE_1) | instskip(NEXT) | instid1(SALU_CYCLE_1)
	s_lshl_b64 s[24:25], s[24:25], 3
	s_add_nc_u64 s[24:25], s[8:9], s[24:25]
	global_load_b64 v[12:13], v3, s[24:25]
	s_wait_loadcnt 0x0
	v_cmp_eq_f64_e32 vcc_lo, 0, v[12:13]
	s_cbranch_vccnz .LBB46_3
; %bb.5:                                ;   in Loop: Header=BB46_4 Depth=1
	s_lshl_b64 s[28:29], s[6:7], 3
	s_wait_kmcnt 0x0
	s_add_nc_u64 s[34:35], s[22:23], s[28:29]
	s_add_nc_u64 s[36:37], s[14:15], s[28:29]
	s_load_b64 s[26:27], s[34:35], 0x0
	s_load_b64 s[24:25], s[36:37], 0x0
	s_and_saveexec_b32 s31, s0
	s_cbranch_execz .LBB46_9
; %bb.6:                                ;   in Loop: Header=BB46_4 Depth=1
	v_mov_b64_e32 v[14:15], 0
	s_and_saveexec_b32 s33, s1
	s_cbranch_execz .LBB46_8
; %bb.7:                                ;   in Loop: Header=BB46_4 Depth=1
	s_add_nc_u64 s[28:29], s[18:19], s[28:29]
	s_load_b64 s[28:29], s[28:29], 0x0
	s_wait_kmcnt 0x0
	s_wait_xcnt 0x0
	s_add_nc_u64 s[28:29], s[28:29], s[12:13]
	s_delay_alu instid0(SALU_CYCLE_1)
	v_lshl_add_u64 v[14:15], v[6:7], 3, s[28:29]
	flat_load_b64 v[14:15], v[14:15]
.LBB46_8:                               ;   in Loop: Header=BB46_4 Depth=1
	s_wait_xcnt 0x0
	s_or_b32 exec_lo, exec_lo, s33
	s_wait_loadcnt_dscnt 0x0
	ds_store_b64 v17, v[14:15]
.LBB46_9:                               ;   in Loop: Header=BB46_4 Depth=1
	s_or_b32 exec_lo, exec_lo, s31
	s_and_saveexec_b32 s28, s2
	s_cbranch_execz .LBB46_13
; %bb.10:                               ;   in Loop: Header=BB46_4 Depth=1
	v_mov_b64_e32 v[14:15], 0
	s_and_saveexec_b32 s29, s3
	s_cbranch_execz .LBB46_12
; %bb.11:                               ;   in Loop: Header=BB46_4 Depth=1
	s_wait_kmcnt 0x0
	s_add_nc_u64 s[26:27], s[26:27], s[16:17]
	s_delay_alu instid0(SALU_CYCLE_1)
	v_lshl_add_u64 v[14:15], v[4:5], 3, s[26:27]
	flat_load_b64 v[14:15], v[14:15]
.LBB46_12:                              ;   in Loop: Header=BB46_4 Depth=1
	s_wait_xcnt 0x0
	s_or_b32 exec_lo, exec_lo, s29
	s_wait_loadcnt_dscnt 0x0
	ds_store_b64 v2, v[14:15]
.LBB46_13:                              ;   in Loop: Header=BB46_4 Depth=1
	s_or_b32 exec_lo, exec_lo, s28
	s_wait_dscnt 0x0
	s_barrier_signal -1
	s_barrier_wait -1
	s_wait_kmcnt 0x0
	s_and_saveexec_b32 s26, s1
	s_cbranch_execz .LBB46_2
; %bb.14:                               ;   in Loop: Header=BB46_4 Depth=1
	ds_load_b64 v[14:15], v17
	s_add_nc_u64 s[24:25], s[24:25], s[20:21]
	s_wait_dscnt 0x0
	v_mul_f64_e32 v[12:13], v[12:13], v[14:15]
	v_lshl_add_u64 v[14:15], v[0:1], 3, s[24:25]
	s_and_saveexec_b32 s24, s4
	s_cbranch_execz .LBB46_16
; %bb.15:                               ;   in Loop: Header=BB46_4 Depth=1
	s_delay_alu instid0(VALU_DEP_1)
	v_lshl_add_u64 v[18:19], v[8:9], 3, v[14:15]
	ds_load_b64 v[22:23], v16
	flat_load_b64 v[20:21], v[18:19]
	s_wait_loadcnt_dscnt 0x0
	v_fmac_f64_e32 v[20:21], v[12:13], v[22:23]
	flat_store_b64 v[18:19], v[20:21]
.LBB46_16:                              ;   in Loop: Header=BB46_4 Depth=1
	s_wait_xcnt 0x0
	s_or_b32 exec_lo, exec_lo, s24
	s_delay_alu instid0(SALU_CYCLE_1)
	s_and_b32 exec_lo, exec_lo, s5
	s_cbranch_execz .LBB46_2
; %bb.17:                               ;   in Loop: Header=BB46_4 Depth=1
	v_lshl_add_u64 v[14:15], v[10:11], 3, v[14:15]
	ds_load_b64 v[20:21], v16 offset:8
	flat_load_b64 v[18:19], v[14:15]
	s_wait_loadcnt_dscnt 0x0
	v_fmac_f64_e32 v[18:19], v[12:13], v[20:21]
	flat_store_b64 v[14:15], v[18:19]
	s_branch .LBB46_2
.LBB46_18:
	s_endpgm
	.section	.rodata,"a",@progbits
	.p2align	6, 0x0
	.amdhsa_kernel _ZL18rocblas_ger_kernelILi32ELi32ELi2ELb0EdPKdPKS1_PKPdEviiT4_lT5_lllS8_lllT6_lmli
		.amdhsa_group_segment_fixed_size 768
		.amdhsa_private_segment_fixed_size 0
		.amdhsa_kernarg_size 124
		.amdhsa_user_sgpr_count 2
		.amdhsa_user_sgpr_dispatch_ptr 0
		.amdhsa_user_sgpr_queue_ptr 0
		.amdhsa_user_sgpr_kernarg_segment_ptr 1
		.amdhsa_user_sgpr_dispatch_id 0
		.amdhsa_user_sgpr_kernarg_preload_length 0
		.amdhsa_user_sgpr_kernarg_preload_offset 0
		.amdhsa_user_sgpr_private_segment_size 0
		.amdhsa_wavefront_size32 1
		.amdhsa_uses_dynamic_stack 0
		.amdhsa_enable_private_segment 0
		.amdhsa_system_sgpr_workgroup_id_x 1
		.amdhsa_system_sgpr_workgroup_id_y 0
		.amdhsa_system_sgpr_workgroup_id_z 1
		.amdhsa_system_sgpr_workgroup_info 0
		.amdhsa_system_vgpr_workitem_id 1
		.amdhsa_next_free_vgpr 24
		.amdhsa_next_free_sgpr 38
		.amdhsa_named_barrier_count 0
		.amdhsa_reserve_vcc 1
		.amdhsa_float_round_mode_32 0
		.amdhsa_float_round_mode_16_64 0
		.amdhsa_float_denorm_mode_32 3
		.amdhsa_float_denorm_mode_16_64 3
		.amdhsa_fp16_overflow 0
		.amdhsa_memory_ordered 1
		.amdhsa_forward_progress 1
		.amdhsa_inst_pref_size 8
		.amdhsa_round_robin_scheduling 0
		.amdhsa_exception_fp_ieee_invalid_op 0
		.amdhsa_exception_fp_denorm_src 0
		.amdhsa_exception_fp_ieee_div_zero 0
		.amdhsa_exception_fp_ieee_overflow 0
		.amdhsa_exception_fp_ieee_underflow 0
		.amdhsa_exception_fp_ieee_inexact 0
		.amdhsa_exception_int_div_zero 0
	.end_amdhsa_kernel
	.section	.text._ZL18rocblas_ger_kernelILi32ELi32ELi2ELb0EdPKdPKS1_PKPdEviiT4_lT5_lllS8_lllT6_lmli,"axG",@progbits,_ZL18rocblas_ger_kernelILi32ELi32ELi2ELb0EdPKdPKS1_PKPdEviiT4_lT5_lllS8_lllT6_lmli,comdat
.Lfunc_end46:
	.size	_ZL18rocblas_ger_kernelILi32ELi32ELi2ELb0EdPKdPKS1_PKPdEviiT4_lT5_lllS8_lllT6_lmli, .Lfunc_end46-_ZL18rocblas_ger_kernelILi32ELi32ELi2ELb0EdPKdPKS1_PKPdEviiT4_lT5_lllS8_lllT6_lmli
                                        ; -- End function
	.set _ZL18rocblas_ger_kernelILi32ELi32ELi2ELb0EdPKdPKS1_PKPdEviiT4_lT5_lllS8_lllT6_lmli.num_vgpr, 24
	.set _ZL18rocblas_ger_kernelILi32ELi32ELi2ELb0EdPKdPKS1_PKPdEviiT4_lT5_lllS8_lllT6_lmli.num_agpr, 0
	.set _ZL18rocblas_ger_kernelILi32ELi32ELi2ELb0EdPKdPKS1_PKPdEviiT4_lT5_lllS8_lllT6_lmli.numbered_sgpr, 38
	.set _ZL18rocblas_ger_kernelILi32ELi32ELi2ELb0EdPKdPKS1_PKPdEviiT4_lT5_lllS8_lllT6_lmli.num_named_barrier, 0
	.set _ZL18rocblas_ger_kernelILi32ELi32ELi2ELb0EdPKdPKS1_PKPdEviiT4_lT5_lllS8_lllT6_lmli.private_seg_size, 0
	.set _ZL18rocblas_ger_kernelILi32ELi32ELi2ELb0EdPKdPKS1_PKPdEviiT4_lT5_lllS8_lllT6_lmli.uses_vcc, 1
	.set _ZL18rocblas_ger_kernelILi32ELi32ELi2ELb0EdPKdPKS1_PKPdEviiT4_lT5_lllS8_lllT6_lmli.uses_flat_scratch, 0
	.set _ZL18rocblas_ger_kernelILi32ELi32ELi2ELb0EdPKdPKS1_PKPdEviiT4_lT5_lllS8_lllT6_lmli.has_dyn_sized_stack, 0
	.set _ZL18rocblas_ger_kernelILi32ELi32ELi2ELb0EdPKdPKS1_PKPdEviiT4_lT5_lllS8_lllT6_lmli.has_recursion, 0
	.set _ZL18rocblas_ger_kernelILi32ELi32ELi2ELb0EdPKdPKS1_PKPdEviiT4_lT5_lllS8_lllT6_lmli.has_indirect_call, 0
	.section	.AMDGPU.csdata,"",@progbits
; Kernel info:
; codeLenInByte = 968
; TotalNumSgprs: 40
; NumVgprs: 24
; ScratchSize: 0
; MemoryBound: 0
; FloatMode: 240
; IeeeMode: 1
; LDSByteSize: 768 bytes/workgroup (compile time only)
; SGPRBlocks: 0
; VGPRBlocks: 1
; NumSGPRsForWavesPerEU: 40
; NumVGPRsForWavesPerEU: 24
; NamedBarCnt: 0
; Occupancy: 16
; WaveLimiterHint : 1
; COMPUTE_PGM_RSRC2:SCRATCH_EN: 0
; COMPUTE_PGM_RSRC2:USER_SGPR: 2
; COMPUTE_PGM_RSRC2:TRAP_HANDLER: 0
; COMPUTE_PGM_RSRC2:TGID_X_EN: 1
; COMPUTE_PGM_RSRC2:TGID_Y_EN: 0
; COMPUTE_PGM_RSRC2:TGID_Z_EN: 1
; COMPUTE_PGM_RSRC2:TIDIG_COMP_CNT: 1
	.section	.text._ZL18rocblas_ger_kernelILi32ELi32ELi2ELb0EddPKPKdPKPdEviiT4_lT5_lllS8_lllT6_lmli,"axG",@progbits,_ZL18rocblas_ger_kernelILi32ELi32ELi2ELb0EddPKPKdPKPdEviiT4_lT5_lllS8_lllT6_lmli,comdat
	.globl	_ZL18rocblas_ger_kernelILi32ELi32ELi2ELb0EddPKPKdPKPdEviiT4_lT5_lllS8_lllT6_lmli ; -- Begin function _ZL18rocblas_ger_kernelILi32ELi32ELi2ELb0EddPKPKdPKPdEviiT4_lT5_lllS8_lllT6_lmli
	.p2align	8
	.type	_ZL18rocblas_ger_kernelILi32ELi32ELi2ELb0EddPKPKdPKPdEviiT4_lT5_lllS8_lllT6_lmli,@function
_ZL18rocblas_ger_kernelILi32ELi32ELi2ELb0EddPKPKdPKPdEviiT4_lT5_lllS8_lllT6_lmli: ; @_ZL18rocblas_ger_kernelILi32ELi32ELi2ELb0EddPKPKdPKPdEviiT4_lT5_lllS8_lllT6_lmli
; %bb.0:
	s_load_b32 s26, s[0:1], 0x78
	s_bfe_u32 s2, ttmp6, 0x40014
	s_lshr_b32 s3, ttmp7, 16
	s_add_co_i32 s2, s2, 1
	s_bfe_u32 s5, ttmp6, 0x40008
	s_mul_i32 s4, s3, s2
	s_getreg_b32 s2, hwreg(HW_REG_IB_STS2, 6, 4)
	s_add_co_i32 s5, s5, s4
	s_cmp_eq_u32 s2, 0
	s_mov_b32 s21, 0
	s_cselect_b32 s20, s3, s5
	s_wait_kmcnt 0x0
	s_cmp_ge_u32 s20, s26
	s_cbranch_scc1 .LBB47_18
; %bb.1:
	s_clause 0x1
	s_load_b128 s[4:7], s[0:1], 0x0
	s_load_b128 s[16:19], s[0:1], 0x60
	s_bfe_u32 s10, ttmp6, 0x4000c
	s_and_b32 s9, ttmp6, 15
	s_add_co_i32 s10, s10, 1
	v_bfe_u32 v14, v0, 10, 10
	s_mul_i32 s10, ttmp9, s10
	v_and_b32_e32 v18, 0x3ff, v0
	s_add_co_i32 s12, s9, s10
	v_mov_b32_e32 v17, 0
	s_wait_kmcnt 0x0
	s_add_co_i32 s3, s4, -1
	v_cmp_neq_f64_e64 s27, s[6:7], 0
	s_ashr_i32 s8, s3, 31
	s_delay_alu instid0(SALU_CYCLE_1) | instskip(NEXT) | instid1(SALU_CYCLE_1)
	s_lshr_b32 s8, s8, 27
	s_add_co_i32 s3, s3, s8
	s_delay_alu instid0(SALU_CYCLE_1) | instskip(NEXT) | instid1(SALU_CYCLE_1)
	s_ashr_i32 s3, s3, 5
	s_add_co_i32 s22, s3, 1
	s_not_b32 s3, s3
	s_cvt_f32_u32 s8, s22
	s_delay_alu instid0(SALU_CYCLE_3) | instskip(SKIP_1) | instid1(TRANS32_DEP_1)
	v_rcp_iflag_f32_e32 v1, s8
	v_nop
	v_readfirstlane_b32 s8, v1
	v_lshlrev_b32_e32 v1, 1, v14
	s_mul_f32 s8, s8, 0x4f7ffffe
	s_delay_alu instid0(SALU_CYCLE_3) | instskip(NEXT) | instid1(SALU_CYCLE_3)
	s_cvt_u32_f32 s8, s8
	s_mul_i32 s3, s3, s8
	s_delay_alu instid0(SALU_CYCLE_1) | instskip(NEXT) | instid1(SALU_CYCLE_1)
	s_mul_hi_u32 s3, s8, s3
	s_add_co_i32 s3, s8, s3
	s_cmp_eq_u32 s2, 0
	s_load_b128 s[8:11], s[0:1], 0x20
	s_cselect_b32 s2, ttmp9, s12
	s_load_b128 s[12:15], s[0:1], 0x40
	s_mul_hi_u32 s3, s2, s3
	s_delay_alu instid0(SALU_CYCLE_1) | instskip(SKIP_2) | instid1(SALU_CYCLE_1)
	s_mul_i32 s23, s3, s22
	s_add_co_i32 s24, s3, 1
	s_sub_co_i32 s23, s2, s23
	s_sub_co_i32 s25, s23, s22
	s_cmp_ge_u32 s23, s22
	s_cselect_b32 s3, s24, s3
	s_cselect_b32 s23, s25, s23
	s_add_co_i32 s24, s3, 1
	s_cmp_ge_u32 s23, s22
	s_cselect_b32 s3, s24, s3
	s_lshl_b64 s[16:17], s[16:17], 3
	v_lshl_add_u32 v10, s3, 6, v1
	s_mul_i32 s22, s3, s22
	s_wait_kmcnt 0x0
	s_lshl_b64 s[8:9], s[8:9], 3
	s_sub_co_i32 s2, s2, s22
	s_lshl_b64 s[12:13], s[12:13], 3
	v_lshl_add_u32 v0, s2, 5, v18
	v_dual_ashrrev_i32 v11, 31, v10 :: v_dual_bitop2_b32 v12, 1, v10 bitop3:0x54
	v_cmp_gt_u32_e64 s2, 2, v18
	s_delay_alu instid0(VALU_DEP_3) | instskip(NEXT) | instid1(VALU_DEP_3)
	v_dual_ashrrev_i32 v1, 31, v0 :: v_dual_bitop2_b32 v16, v10, v18 bitop3:0x54
	v_ashrrev_i32_e32 v13, 31, v12
	s_delay_alu instid0(VALU_DEP_4) | instskip(SKIP_1) | instid1(VALU_DEP_4)
	v_mul_u64_e32 v[6:7], s[18:19], v[10:11]
	v_lshlrev_b32_e32 v11, 3, v18
	v_mul_u64_e32 v[4:5], s[10:11], v[0:1]
	v_mul_u64_e32 v[2:3], s[14:15], v[16:17]
	;; [unrolled: 1-line block ×3, first 2 shown]
	s_clause 0x2
	s_load_b64 s[10:11], s[0:1], 0x58
	s_load_b64 s[14:15], s[0:1], 0x18
	s_load_b64 s[18:19], s[0:1], 0x38
	s_wait_xcnt 0x0
	v_cmp_eq_u32_e64 s0, 0, v14
	v_lshlrev_b32_e32 v14, 4, v14
	v_cmp_gt_i32_e64 s1, s4, v0
	v_add_nc_u32_e32 v15, 0x200, v11
	v_cmp_gt_u32_e64 s3, s5, v16
	v_cmp_gt_i32_e64 s4, s5, v10
	v_add_nc_u32_e32 v16, v14, v11
	v_cmp_gt_i32_e64 s5, s5, v12
	s_branch .LBB47_4
.LBB47_2:                               ;   in Loop: Header=BB47_4 Depth=1
	s_wait_xcnt 0x0
	s_or_b32 exec_lo, exec_lo, s24
.LBB47_3:                               ;   in Loop: Header=BB47_4 Depth=1
	s_add_co_i32 s20, s20, 0x10000
	s_delay_alu instid0(SALU_CYCLE_1)
	s_cmp_lt_u32 s20, s26
	s_cbranch_scc0 .LBB47_18
.LBB47_4:                               ; =>This Inner Loop Header: Depth=1
	s_and_not1_b32 vcc_lo, exec_lo, s27
	s_cbranch_vccnz .LBB47_3
; %bb.5:                                ;   in Loop: Header=BB47_4 Depth=1
	s_wait_kmcnt 0x0
	s_load_b64 s[24:25], s[18:19], s20 offset:0x0 scale_offset
	s_load_b64 s[22:23], s[10:11], s20 offset:0x0 scale_offset
	s_and_saveexec_b32 s28, s0
	s_cbranch_execz .LBB47_9
; %bb.6:                                ;   in Loop: Header=BB47_4 Depth=1
	v_mov_b64_e32 v[10:11], 0
	s_and_saveexec_b32 s29, s1
	s_cbranch_execz .LBB47_8
; %bb.7:                                ;   in Loop: Header=BB47_4 Depth=1
	s_lshl_b64 s[30:31], s[20:21], 3
	s_delay_alu instid0(SALU_CYCLE_1) | instskip(SKIP_4) | instid1(SALU_CYCLE_1)
	s_add_nc_u64 s[30:31], s[14:15], s[30:31]
	s_load_b64 s[30:31], s[30:31], 0x0
	s_wait_kmcnt 0x0
	s_wait_xcnt 0x0
	s_add_nc_u64 s[30:31], s[30:31], s[8:9]
	v_lshl_add_u64 v[10:11], v[4:5], 3, s[30:31]
	flat_load_b64 v[10:11], v[10:11]
.LBB47_8:                               ;   in Loop: Header=BB47_4 Depth=1
	s_wait_xcnt 0x0
	s_or_b32 exec_lo, exec_lo, s29
	s_wait_loadcnt_dscnt 0x0
	ds_store_b64 v15, v[10:11]
.LBB47_9:                               ;   in Loop: Header=BB47_4 Depth=1
	s_or_b32 exec_lo, exec_lo, s28
	s_and_saveexec_b32 s28, s2
	s_cbranch_execz .LBB47_13
; %bb.10:                               ;   in Loop: Header=BB47_4 Depth=1
	v_mov_b64_e32 v[10:11], 0
	s_and_saveexec_b32 s29, s3
	s_cbranch_execz .LBB47_12
; %bb.11:                               ;   in Loop: Header=BB47_4 Depth=1
	s_wait_kmcnt 0x0
	s_add_nc_u64 s[24:25], s[24:25], s[12:13]
	s_delay_alu instid0(SALU_CYCLE_1)
	v_lshl_add_u64 v[10:11], v[2:3], 3, s[24:25]
	flat_load_b64 v[10:11], v[10:11]
.LBB47_12:                              ;   in Loop: Header=BB47_4 Depth=1
	s_wait_xcnt 0x0
	s_or_b32 exec_lo, exec_lo, s29
	s_wait_loadcnt_dscnt 0x0
	ds_store_b64 v16, v[10:11]
.LBB47_13:                              ;   in Loop: Header=BB47_4 Depth=1
	s_or_b32 exec_lo, exec_lo, s28
	s_wait_dscnt 0x0
	s_barrier_signal -1
	s_barrier_wait -1
	s_wait_kmcnt 0x0
	s_and_saveexec_b32 s24, s1
	s_cbranch_execz .LBB47_2
; %bb.14:                               ;   in Loop: Header=BB47_4 Depth=1
	ds_load_b64 v[10:11], v15
	s_add_nc_u64 s[22:23], s[22:23], s[16:17]
	s_delay_alu instid0(SALU_CYCLE_1)
	v_lshl_add_u64 v[12:13], v[0:1], 3, s[22:23]
	s_wait_dscnt 0x0
	v_mul_f64_e32 v[10:11], s[6:7], v[10:11]
	s_and_saveexec_b32 s22, s4
	s_cbranch_execz .LBB47_16
; %bb.15:                               ;   in Loop: Header=BB47_4 Depth=1
	v_lshl_add_u64 v[18:19], v[6:7], 3, v[12:13]
	ds_load_b64 v[22:23], v14
	flat_load_b64 v[20:21], v[18:19]
	s_wait_loadcnt_dscnt 0x0
	v_fmac_f64_e32 v[20:21], v[10:11], v[22:23]
	flat_store_b64 v[18:19], v[20:21]
.LBB47_16:                              ;   in Loop: Header=BB47_4 Depth=1
	s_wait_xcnt 0x0
	s_or_b32 exec_lo, exec_lo, s22
	s_delay_alu instid0(SALU_CYCLE_1)
	s_and_b32 exec_lo, exec_lo, s5
	s_cbranch_execz .LBB47_2
; %bb.17:                               ;   in Loop: Header=BB47_4 Depth=1
	v_lshl_add_u64 v[12:13], v[8:9], 3, v[12:13]
	ds_load_b64 v[20:21], v14 offset:8
	flat_load_b64 v[18:19], v[12:13]
	s_wait_loadcnt_dscnt 0x0
	v_fmac_f64_e32 v[18:19], v[10:11], v[20:21]
	flat_store_b64 v[12:13], v[18:19]
	s_branch .LBB47_2
.LBB47_18:
	s_endpgm
	.section	.rodata,"a",@progbits
	.p2align	6, 0x0
	.amdhsa_kernel _ZL18rocblas_ger_kernelILi32ELi32ELi2ELb0EddPKPKdPKPdEviiT4_lT5_lllS8_lllT6_lmli
		.amdhsa_group_segment_fixed_size 768
		.amdhsa_private_segment_fixed_size 0
		.amdhsa_kernarg_size 124
		.amdhsa_user_sgpr_count 2
		.amdhsa_user_sgpr_dispatch_ptr 0
		.amdhsa_user_sgpr_queue_ptr 0
		.amdhsa_user_sgpr_kernarg_segment_ptr 1
		.amdhsa_user_sgpr_dispatch_id 0
		.amdhsa_user_sgpr_kernarg_preload_length 0
		.amdhsa_user_sgpr_kernarg_preload_offset 0
		.amdhsa_user_sgpr_private_segment_size 0
		.amdhsa_wavefront_size32 1
		.amdhsa_uses_dynamic_stack 0
		.amdhsa_enable_private_segment 0
		.amdhsa_system_sgpr_workgroup_id_x 1
		.amdhsa_system_sgpr_workgroup_id_y 0
		.amdhsa_system_sgpr_workgroup_id_z 1
		.amdhsa_system_sgpr_workgroup_info 0
		.amdhsa_system_vgpr_workitem_id 1
		.amdhsa_next_free_vgpr 24
		.amdhsa_next_free_sgpr 32
		.amdhsa_named_barrier_count 0
		.amdhsa_reserve_vcc 1
		.amdhsa_float_round_mode_32 0
		.amdhsa_float_round_mode_16_64 0
		.amdhsa_float_denorm_mode_32 3
		.amdhsa_float_denorm_mode_16_64 3
		.amdhsa_fp16_overflow 0
		.amdhsa_memory_ordered 1
		.amdhsa_forward_progress 1
		.amdhsa_inst_pref_size 8
		.amdhsa_round_robin_scheduling 0
		.amdhsa_exception_fp_ieee_invalid_op 0
		.amdhsa_exception_fp_denorm_src 0
		.amdhsa_exception_fp_ieee_div_zero 0
		.amdhsa_exception_fp_ieee_overflow 0
		.amdhsa_exception_fp_ieee_underflow 0
		.amdhsa_exception_fp_ieee_inexact 0
		.amdhsa_exception_int_div_zero 0
	.end_amdhsa_kernel
	.section	.text._ZL18rocblas_ger_kernelILi32ELi32ELi2ELb0EddPKPKdPKPdEviiT4_lT5_lllS8_lllT6_lmli,"axG",@progbits,_ZL18rocblas_ger_kernelILi32ELi32ELi2ELb0EddPKPKdPKPdEviiT4_lT5_lllS8_lllT6_lmli,comdat
.Lfunc_end47:
	.size	_ZL18rocblas_ger_kernelILi32ELi32ELi2ELb0EddPKPKdPKPdEviiT4_lT5_lllS8_lllT6_lmli, .Lfunc_end47-_ZL18rocblas_ger_kernelILi32ELi32ELi2ELb0EddPKPKdPKPdEviiT4_lT5_lllS8_lllT6_lmli
                                        ; -- End function
	.set _ZL18rocblas_ger_kernelILi32ELi32ELi2ELb0EddPKPKdPKPdEviiT4_lT5_lllS8_lllT6_lmli.num_vgpr, 24
	.set _ZL18rocblas_ger_kernelILi32ELi32ELi2ELb0EddPKPKdPKPdEviiT4_lT5_lllS8_lllT6_lmli.num_agpr, 0
	.set _ZL18rocblas_ger_kernelILi32ELi32ELi2ELb0EddPKPKdPKPdEviiT4_lT5_lllS8_lllT6_lmli.numbered_sgpr, 32
	.set _ZL18rocblas_ger_kernelILi32ELi32ELi2ELb0EddPKPKdPKPdEviiT4_lT5_lllS8_lllT6_lmli.num_named_barrier, 0
	.set _ZL18rocblas_ger_kernelILi32ELi32ELi2ELb0EddPKPKdPKPdEviiT4_lT5_lllS8_lllT6_lmli.private_seg_size, 0
	.set _ZL18rocblas_ger_kernelILi32ELi32ELi2ELb0EddPKPKdPKPdEviiT4_lT5_lllS8_lllT6_lmli.uses_vcc, 1
	.set _ZL18rocblas_ger_kernelILi32ELi32ELi2ELb0EddPKPKdPKPdEviiT4_lT5_lllS8_lllT6_lmli.uses_flat_scratch, 0
	.set _ZL18rocblas_ger_kernelILi32ELi32ELi2ELb0EddPKPKdPKPdEviiT4_lT5_lllS8_lllT6_lmli.has_dyn_sized_stack, 0
	.set _ZL18rocblas_ger_kernelILi32ELi32ELi2ELb0EddPKPKdPKPdEviiT4_lT5_lllS8_lllT6_lmli.has_recursion, 0
	.set _ZL18rocblas_ger_kernelILi32ELi32ELi2ELb0EddPKPKdPKPdEviiT4_lT5_lllS8_lllT6_lmli.has_indirect_call, 0
	.section	.AMDGPU.csdata,"",@progbits
; Kernel info:
; codeLenInByte = 920
; TotalNumSgprs: 34
; NumVgprs: 24
; ScratchSize: 0
; MemoryBound: 0
; FloatMode: 240
; IeeeMode: 1
; LDSByteSize: 768 bytes/workgroup (compile time only)
; SGPRBlocks: 0
; VGPRBlocks: 1
; NumSGPRsForWavesPerEU: 34
; NumVGPRsForWavesPerEU: 24
; NamedBarCnt: 0
; Occupancy: 16
; WaveLimiterHint : 1
; COMPUTE_PGM_RSRC2:SCRATCH_EN: 0
; COMPUTE_PGM_RSRC2:USER_SGPR: 2
; COMPUTE_PGM_RSRC2:TRAP_HANDLER: 0
; COMPUTE_PGM_RSRC2:TGID_X_EN: 1
; COMPUTE_PGM_RSRC2:TGID_Y_EN: 0
; COMPUTE_PGM_RSRC2:TGID_Z_EN: 1
; COMPUTE_PGM_RSRC2:TIDIG_COMP_CNT: 1
	.section	.text._ZL34rocblas_ger_double_buffered_kernelILb0ELi64ELi16ELi2E19rocblas_complex_numIfE24rocblas_internal_val_ptrIS1_EPKPKS1_PKPS1_EvbiiT4_lT5_lllSC_lllT6_lmli,"axG",@progbits,_ZL34rocblas_ger_double_buffered_kernelILb0ELi64ELi16ELi2E19rocblas_complex_numIfE24rocblas_internal_val_ptrIS1_EPKPKS1_PKPS1_EvbiiT4_lT5_lllSC_lllT6_lmli,comdat
	.globl	_ZL34rocblas_ger_double_buffered_kernelILb0ELi64ELi16ELi2E19rocblas_complex_numIfE24rocblas_internal_val_ptrIS1_EPKPKS1_PKPS1_EvbiiT4_lT5_lllSC_lllT6_lmli ; -- Begin function _ZL34rocblas_ger_double_buffered_kernelILb0ELi64ELi16ELi2E19rocblas_complex_numIfE24rocblas_internal_val_ptrIS1_EPKPKS1_PKPS1_EvbiiT4_lT5_lllSC_lllT6_lmli
	.p2align	8
	.type	_ZL34rocblas_ger_double_buffered_kernelILb0ELi64ELi16ELi2E19rocblas_complex_numIfE24rocblas_internal_val_ptrIS1_EPKPKS1_PKPS1_EvbiiT4_lT5_lllSC_lllT6_lmli,@function
_ZL34rocblas_ger_double_buffered_kernelILb0ELi64ELi16ELi2E19rocblas_complex_numIfE24rocblas_internal_val_ptrIS1_EPKPKS1_PKPS1_EvbiiT4_lT5_lllSC_lllT6_lmli: ; @_ZL34rocblas_ger_double_buffered_kernelILb0ELi64ELi16ELi2E19rocblas_complex_numIfE24rocblas_internal_val_ptrIS1_EPKPKS1_PKPS1_EvbiiT4_lT5_lllSC_lllT6_lmli
; %bb.0:
	s_load_b32 s30, s[0:1], 0x80
	s_bfe_u32 s2, ttmp6, 0x40014
	s_lshr_b32 s3, ttmp7, 16
	s_add_co_i32 s2, s2, 1
	s_bfe_u32 s4, ttmp6, 0x40008
	s_mul_i32 s2, s3, s2
	s_getreg_b32 s24, hwreg(HW_REG_IB_STS2, 6, 4)
	s_add_co_i32 s4, s4, s2
	s_cmp_eq_u32 s24, 0
	s_cselect_b32 s2, s3, s4
	s_mov_b32 s3, 0
	s_wait_kmcnt 0x0
	s_cmp_ge_u32 s2, s30
	s_cbranch_scc1 .LBB48_7
; %bb.1:
	v_lshrrev_b32_e32 v1, 4, v0
	s_load_b128 s[4:7], s[0:1], 0x68
	v_and_b32_e32 v2, 0x3ff, v0
	s_clause 0x3
	s_load_b128 s[16:19], s[0:1], 0x48
	s_load_b128 s[12:15], s[0:1], 0x28
	s_load_b32 s25, s[0:1], 0x0
	s_load_b128 s[8:11], s[0:1], 0x10
	v_and_b32_e32 v1, 0xffc0, v1
	s_clause 0x1
	s_load_b64 s[20:21], s[0:1], 0x60
	s_load_b64 s[22:23], s[0:1], 0x20
	s_delay_alu instid0(VALU_DEP_1) | instskip(NEXT) | instid1(VALU_DEP_1)
	v_dual_mov_b32 v1, 0 :: v_dual_add_nc_u32 v2, v1, v2
	v_dual_lshrrev_b32 v6, 4, v2 :: v_dual_bitop2_b32 v12, 31, v0 bitop3:0x40
	s_delay_alu instid0(VALU_DEP_1) | instskip(SKIP_1) | instid1(VALU_DEP_3)
	v_dual_mov_b32 v13, v1 :: v_dual_bitop2_b32 v8, 32, v12 bitop3:0x54
	v_mov_b32_e32 v9, v1
	v_and_b32_e32 v0, 0x1ffe, v6
	s_wait_kmcnt 0x0
	s_delay_alu instid0(VALU_DEP_2) | instskip(SKIP_1) | instid1(VALU_DEP_2)
	v_mul_u64_e32 v[8:9], s[14:15], v[8:9]
	s_bitcmp1_b32 s25, 0
	v_mul_u64_e32 v[2:3], s[6:7], v[0:1]
	v_mul_u64_e32 v[4:5], s[18:19], v[0:1]
	v_or_b32_e32 v0, 1, v6
	v_mul_u64_e32 v[6:7], s[14:15], v[12:13]
	s_cselect_b32 s25, -1, 0
	s_bfe_u32 s26, ttmp6, 0x4000c
	s_bfe_u32 s28, ttmp6, 0x40010
	v_mul_u64_e32 v[10:11], s[18:19], v[0:1]
	s_add_co_i32 s26, s26, 1
	s_and_b32 s29, ttmp7, 0xffff
	s_add_co_i32 s28, s28, 1
	s_xor_b32 s27, s25, -1
	s_and_b32 s25, ttmp6, 15
	s_mul_i32 s26, ttmp9, s26
	s_mul_i32 s28, s29, s28
	s_bfe_u32 s31, ttmp6, 0x40004
	s_add_co_i32 s26, s25, s26
	s_add_co_i32 s31, s31, s28
	s_cmp_eq_u32 s24, 0
	s_load_b64 s[24:25], s[0:1], 0x40
	s_wait_xcnt 0x0
	s_cselect_b32 s0, ttmp9, s26
	v_cndmask_b32_e64 v0, 0, 1, s27
	s_cselect_b32 s1, s29, s31
	s_lshl_b32 s26, s0, 6
	s_lshl_b32 s0, s1, 6
	s_mov_b32 s1, s3
	s_ashr_i32 s27, s26, 31
	s_mul_u64 s[28:29], s[6:7], s[0:1]
	s_mul_u64 s[36:37], s[18:19], s[0:1]
	v_cmp_ne_u32_e64 s0, 1, v0
	v_lshlrev_b32_e32 v0, 3, v12
	s_mul_u64 s[34:35], s[14:15], s[26:27]
	s_lshl_b64 s[4:5], s[4:5], 3
	s_lshl_b64 s[14:15], s[16:17], 3
	;; [unrolled: 1-line block ×7, first 2 shown]
	s_branch .LBB48_3
.LBB48_2:                               ;   in Loop: Header=BB48_3 Depth=1
	s_add_co_i32 s2, s2, 0x10000
	s_delay_alu instid0(SALU_CYCLE_1)
	s_cmp_lt_u32 s2, s30
	s_cbranch_scc0 .LBB48_7
.LBB48_3:                               ; =>This Inner Loop Header: Depth=1
	s_wait_xcnt 0x1
	v_mov_b64_e32 v[12:13], s[8:9]
	s_and_b32 vcc_lo, exec_lo, s0
	s_cbranch_vccnz .LBB48_5
; %bb.4:                                ;   in Loop: Header=BB48_3 Depth=1
	s_wait_xcnt 0x0
	s_mul_u64 s[34:35], s[10:11], s[2:3]
	s_delay_alu instid0(SALU_CYCLE_1) | instskip(NEXT) | instid1(SALU_CYCLE_1)
	s_lshl_b64 s[34:35], s[34:35], 3
	s_add_nc_u64 s[34:35], s[8:9], s[34:35]
	global_load_b64 v[12:13], v1, s[34:35]
.LBB48_5:                               ;   in Loop: Header=BB48_3 Depth=1
	s_wait_loadcnt 0x0
	s_delay_alu instid0(VALU_DEP_1) | instskip(NEXT) | instid1(VALU_DEP_2)
	v_cmp_neq_f32_e32 vcc_lo, 0, v13
	v_cmp_neq_f32_e64 s1, 0, v12
	s_or_b32 s1, s1, vcc_lo
	s_delay_alu instid0(SALU_CYCLE_1)
	s_and_not1_b32 vcc_lo, exec_lo, s1
	s_cbranch_vccnz .LBB48_2
; %bb.6:                                ;   in Loop: Header=BB48_3 Depth=1
	s_wait_xcnt 0x0
	s_lshl_b64 s[34:35], s[2:3], 3
	s_delay_alu instid0(SALU_CYCLE_1)
	s_add_nc_u64 s[36:37], s[22:23], s[34:35]
	s_wait_kmcnt 0x0
	s_add_nc_u64 s[38:39], s[24:25], s[34:35]
	s_load_b64 s[36:37], s[36:37], 0x0
	s_add_nc_u64 s[34:35], s[20:21], s[34:35]
	s_load_b64 s[38:39], s[38:39], 0x0
	s_wait_kmcnt 0x0
	s_wait_xcnt 0x0
	s_add_nc_u64 s[36:37], s[36:37], s[12:13]
	s_load_b64 s[34:35], s[34:35], 0x0
	s_add_nc_u64 s[36:37], s[36:37], s[26:27]
	s_delay_alu instid0(SALU_CYCLE_1) | instskip(SKIP_2) | instid1(SALU_CYCLE_1)
	v_lshl_add_u64 v[14:15], v[6:7], 3, s[36:37]
	v_lshl_add_u64 v[16:17], v[8:9], 3, s[36:37]
	s_add_nc_u64 s[36:37], s[38:39], s[14:15]
	s_add_nc_u64 s[36:37], s[36:37], s[28:29]
	s_clause 0x1
	flat_load_b64 v[14:15], v[14:15]
	flat_load_b64 v[16:17], v[16:17]
	v_lshl_add_u64 v[18:19], v[10:11], 3, s[36:37]
	v_lshl_add_u64 v[20:21], v[4:5], 3, s[36:37]
	s_clause 0x1
	flat_load_b64 v[18:19], v[18:19]
	flat_load_b64 v[20:21], v[20:21]
	s_wait_kmcnt 0x0
	s_add_nc_u64 s[34:35], s[34:35], s[4:5]
	s_delay_alu instid0(SALU_CYCLE_1) | instskip(NEXT) | instid1(SALU_CYCLE_1)
	s_add_nc_u64 s[34:35], s[34:35], s[16:17]
	s_add_nc_u64 s[34:35], s[34:35], s[18:19]
	s_delay_alu instid0(SALU_CYCLE_1) | instskip(NEXT) | instid1(VALU_DEP_1)
	v_lshl_add_u64 v[22:23], v[2:3], 3, s[34:35]
	v_add_nc_u64_e32 v[22:23], v[22:23], v[0:1]
	s_delay_alu instid0(VALU_DEP_1)
	v_lshl_add_u64 v[24:25], s[6:7], 3, v[22:23]
	s_clause 0x3
	flat_load_b64 v[26:27], v[22:23]
	flat_load_b64 v[28:29], v[24:25]
	flat_load_b64 v[30:31], v[24:25] offset:256
	flat_load_b64 v[32:33], v[22:23] offset:256
	s_wait_loadcnt_dscnt 0x606
	v_dual_mul_f32 v34, v12, v15 :: v_dual_mul_f32 v36, v12, v17
	s_wait_xcnt 0x6
	v_dual_mul_f32 v15, v13, v15 :: v_dual_mul_f32 v17, v13, v17
	s_delay_alu instid0(VALU_DEP_2) | instskip(NEXT) | instid1(VALU_DEP_2)
	v_dual_fmac_f32 v34, v13, v14 :: v_dual_fmac_f32 v36, v13, v16
	v_dual_fma_f32 v14, v12, v14, -v15 :: v_dual_fma_f32 v12, v12, v16, -v17
	s_wait_loadcnt_dscnt 0x505
	s_delay_alu instid0(VALU_DEP_2)
	v_pk_mul_f32 v[38:39], v[34:35], v[18:19] op_sel_hi:[0,1]
	s_wait_loadcnt_dscnt 0x404
	v_pk_mul_f32 v[16:17], v[34:35], v[20:21] op_sel_hi:[0,1]
	v_pk_mul_f32 v[34:35], v[36:37], v[18:19] op_sel_hi:[0,1]
	;; [unrolled: 1-line block ×3, first 2 shown]
	v_pk_fma_f32 v[40:41], v[14:15], v[18:19], v[38:39] op_sel:[0,0,1] op_sel_hi:[1,1,0] neg_lo:[0,0,1] neg_hi:[0,0,1]
	v_pk_fma_f32 v[38:39], v[14:15], v[18:19], v[38:39] op_sel:[0,0,1] op_sel_hi:[0,1,0]
	v_pk_fma_f32 v[42:43], v[14:15], v[20:21], v[16:17] op_sel:[0,0,1] op_sel_hi:[1,1,0] neg_lo:[0,0,1] neg_hi:[0,0,1]
	v_pk_fma_f32 v[14:15], v[14:15], v[20:21], v[16:17] op_sel:[0,0,1] op_sel_hi:[0,1,0]
	v_pk_fma_f32 v[44:45], v[12:13], v[20:21], v[36:37] op_sel:[0,0,1] op_sel_hi:[0,1,0]
	v_pk_fma_f32 v[16:17], v[12:13], v[18:19], v[34:35] op_sel:[0,0,1] op_sel_hi:[1,1,0] neg_lo:[0,0,1] neg_hi:[0,0,1]
	s_wait_xcnt 0x5
	v_pk_fma_f32 v[18:19], v[12:13], v[18:19], v[34:35] op_sel:[0,0,1] op_sel_hi:[0,1,0]
	v_pk_fma_f32 v[12:13], v[12:13], v[20:21], v[36:37] op_sel:[0,0,1] op_sel_hi:[1,1,0] neg_lo:[0,0,1] neg_hi:[0,0,1]
	v_dual_mov_b32 v43, v15 :: v_dual_mov_b32 v41, v39
	s_delay_alu instid0(VALU_DEP_3) | instskip(SKIP_1) | instid1(VALU_DEP_2)
	v_dual_mov_b32 v13, v45 :: v_dual_mov_b32 v17, v19
	s_wait_loadcnt_dscnt 0x303
	v_pk_add_f32 v[14:15], v[26:27], v[42:43]
	s_wait_loadcnt_dscnt 0x202
	v_pk_add_f32 v[18:19], v[28:29], v[40:41]
	s_wait_loadcnt_dscnt 0x101
	v_pk_add_f32 v[16:17], v[30:31], v[16:17]
	s_wait_loadcnt_dscnt 0x0
	v_pk_add_f32 v[12:13], v[32:33], v[12:13]
	s_clause 0x3
	flat_store_b64 v[22:23], v[14:15]
	flat_store_b64 v[24:25], v[18:19]
	flat_store_b64 v[22:23], v[12:13] offset:256
	flat_store_b64 v[24:25], v[16:17] offset:256
	s_branch .LBB48_2
.LBB48_7:
	s_endpgm
	.section	.rodata,"a",@progbits
	.p2align	6, 0x0
	.amdhsa_kernel _ZL34rocblas_ger_double_buffered_kernelILb0ELi64ELi16ELi2E19rocblas_complex_numIfE24rocblas_internal_val_ptrIS1_EPKPKS1_PKPS1_EvbiiT4_lT5_lllSC_lllT6_lmli
		.amdhsa_group_segment_fixed_size 0
		.amdhsa_private_segment_fixed_size 0
		.amdhsa_kernarg_size 132
		.amdhsa_user_sgpr_count 2
		.amdhsa_user_sgpr_dispatch_ptr 0
		.amdhsa_user_sgpr_queue_ptr 0
		.amdhsa_user_sgpr_kernarg_segment_ptr 1
		.amdhsa_user_sgpr_dispatch_id 0
		.amdhsa_user_sgpr_kernarg_preload_length 0
		.amdhsa_user_sgpr_kernarg_preload_offset 0
		.amdhsa_user_sgpr_private_segment_size 0
		.amdhsa_wavefront_size32 1
		.amdhsa_uses_dynamic_stack 0
		.amdhsa_enable_private_segment 0
		.amdhsa_system_sgpr_workgroup_id_x 1
		.amdhsa_system_sgpr_workgroup_id_y 1
		.amdhsa_system_sgpr_workgroup_id_z 1
		.amdhsa_system_sgpr_workgroup_info 0
		.amdhsa_system_vgpr_workitem_id 1
		.amdhsa_next_free_vgpr 46
		.amdhsa_next_free_sgpr 40
		.amdhsa_named_barrier_count 0
		.amdhsa_reserve_vcc 1
		.amdhsa_float_round_mode_32 0
		.amdhsa_float_round_mode_16_64 0
		.amdhsa_float_denorm_mode_32 3
		.amdhsa_float_denorm_mode_16_64 3
		.amdhsa_fp16_overflow 0
		.amdhsa_memory_ordered 1
		.amdhsa_forward_progress 1
		.amdhsa_inst_pref_size 9
		.amdhsa_round_robin_scheduling 0
		.amdhsa_exception_fp_ieee_invalid_op 0
		.amdhsa_exception_fp_denorm_src 0
		.amdhsa_exception_fp_ieee_div_zero 0
		.amdhsa_exception_fp_ieee_overflow 0
		.amdhsa_exception_fp_ieee_underflow 0
		.amdhsa_exception_fp_ieee_inexact 0
		.amdhsa_exception_int_div_zero 0
	.end_amdhsa_kernel
	.section	.text._ZL34rocblas_ger_double_buffered_kernelILb0ELi64ELi16ELi2E19rocblas_complex_numIfE24rocblas_internal_val_ptrIS1_EPKPKS1_PKPS1_EvbiiT4_lT5_lllSC_lllT6_lmli,"axG",@progbits,_ZL34rocblas_ger_double_buffered_kernelILb0ELi64ELi16ELi2E19rocblas_complex_numIfE24rocblas_internal_val_ptrIS1_EPKPKS1_PKPS1_EvbiiT4_lT5_lllSC_lllT6_lmli,comdat
.Lfunc_end48:
	.size	_ZL34rocblas_ger_double_buffered_kernelILb0ELi64ELi16ELi2E19rocblas_complex_numIfE24rocblas_internal_val_ptrIS1_EPKPKS1_PKPS1_EvbiiT4_lT5_lllSC_lllT6_lmli, .Lfunc_end48-_ZL34rocblas_ger_double_buffered_kernelILb0ELi64ELi16ELi2E19rocblas_complex_numIfE24rocblas_internal_val_ptrIS1_EPKPKS1_PKPS1_EvbiiT4_lT5_lllSC_lllT6_lmli
                                        ; -- End function
	.set _ZL34rocblas_ger_double_buffered_kernelILb0ELi64ELi16ELi2E19rocblas_complex_numIfE24rocblas_internal_val_ptrIS1_EPKPKS1_PKPS1_EvbiiT4_lT5_lllSC_lllT6_lmli.num_vgpr, 46
	.set _ZL34rocblas_ger_double_buffered_kernelILb0ELi64ELi16ELi2E19rocblas_complex_numIfE24rocblas_internal_val_ptrIS1_EPKPKS1_PKPS1_EvbiiT4_lT5_lllSC_lllT6_lmli.num_agpr, 0
	.set _ZL34rocblas_ger_double_buffered_kernelILb0ELi64ELi16ELi2E19rocblas_complex_numIfE24rocblas_internal_val_ptrIS1_EPKPKS1_PKPS1_EvbiiT4_lT5_lllSC_lllT6_lmli.numbered_sgpr, 40
	.set _ZL34rocblas_ger_double_buffered_kernelILb0ELi64ELi16ELi2E19rocblas_complex_numIfE24rocblas_internal_val_ptrIS1_EPKPKS1_PKPS1_EvbiiT4_lT5_lllSC_lllT6_lmli.num_named_barrier, 0
	.set _ZL34rocblas_ger_double_buffered_kernelILb0ELi64ELi16ELi2E19rocblas_complex_numIfE24rocblas_internal_val_ptrIS1_EPKPKS1_PKPS1_EvbiiT4_lT5_lllSC_lllT6_lmli.private_seg_size, 0
	.set _ZL34rocblas_ger_double_buffered_kernelILb0ELi64ELi16ELi2E19rocblas_complex_numIfE24rocblas_internal_val_ptrIS1_EPKPKS1_PKPS1_EvbiiT4_lT5_lllSC_lllT6_lmli.uses_vcc, 1
	.set _ZL34rocblas_ger_double_buffered_kernelILb0ELi64ELi16ELi2E19rocblas_complex_numIfE24rocblas_internal_val_ptrIS1_EPKPKS1_PKPS1_EvbiiT4_lT5_lllSC_lllT6_lmli.uses_flat_scratch, 1
	.set _ZL34rocblas_ger_double_buffered_kernelILb0ELi64ELi16ELi2E19rocblas_complex_numIfE24rocblas_internal_val_ptrIS1_EPKPKS1_PKPS1_EvbiiT4_lT5_lllSC_lllT6_lmli.has_dyn_sized_stack, 0
	.set _ZL34rocblas_ger_double_buffered_kernelILb0ELi64ELi16ELi2E19rocblas_complex_numIfE24rocblas_internal_val_ptrIS1_EPKPKS1_PKPS1_EvbiiT4_lT5_lllSC_lllT6_lmli.has_recursion, 0
	.set _ZL34rocblas_ger_double_buffered_kernelILb0ELi64ELi16ELi2E19rocblas_complex_numIfE24rocblas_internal_val_ptrIS1_EPKPKS1_PKPS1_EvbiiT4_lT5_lllSC_lllT6_lmli.has_indirect_call, 0
	.section	.AMDGPU.csdata,"",@progbits
; Kernel info:
; codeLenInByte = 1092
; TotalNumSgprs: 42
; NumVgprs: 46
; ScratchSize: 0
; MemoryBound: 0
; FloatMode: 240
; IeeeMode: 1
; LDSByteSize: 0 bytes/workgroup (compile time only)
; SGPRBlocks: 0
; VGPRBlocks: 2
; NumSGPRsForWavesPerEU: 42
; NumVGPRsForWavesPerEU: 46
; NamedBarCnt: 0
; Occupancy: 16
; WaveLimiterHint : 1
; COMPUTE_PGM_RSRC2:SCRATCH_EN: 0
; COMPUTE_PGM_RSRC2:USER_SGPR: 2
; COMPUTE_PGM_RSRC2:TRAP_HANDLER: 0
; COMPUTE_PGM_RSRC2:TGID_X_EN: 1
; COMPUTE_PGM_RSRC2:TGID_Y_EN: 1
; COMPUTE_PGM_RSRC2:TGID_Z_EN: 1
; COMPUTE_PGM_RSRC2:TIDIG_COMP_CNT: 1
	.section	.text._ZL26rocblas_sger_gfx942_kernelILi256E19rocblas_complex_numIfEPKS1_PKS3_PKPS1_EviiT1_lT2_lllSA_lllT3_lll,"axG",@progbits,_ZL26rocblas_sger_gfx942_kernelILi256E19rocblas_complex_numIfEPKS1_PKS3_PKPS1_EviiT1_lT2_lllSA_lllT3_lll,comdat
	.globl	_ZL26rocblas_sger_gfx942_kernelILi256E19rocblas_complex_numIfEPKS1_PKS3_PKPS1_EviiT1_lT2_lllSA_lllT3_lll ; -- Begin function _ZL26rocblas_sger_gfx942_kernelILi256E19rocblas_complex_numIfEPKS1_PKS3_PKPS1_EviiT1_lT2_lllSA_lllT3_lll
	.p2align	8
	.type	_ZL26rocblas_sger_gfx942_kernelILi256E19rocblas_complex_numIfEPKS1_PKS3_PKPS1_EviiT1_lT2_lllSA_lllT3_lll,@function
_ZL26rocblas_sger_gfx942_kernelILi256E19rocblas_complex_numIfEPKS1_PKS3_PKPS1_EviiT1_lT2_lllSA_lllT3_lll: ; @_ZL26rocblas_sger_gfx942_kernelILi256E19rocblas_complex_numIfEPKS1_PKS3_PKPS1_EviiT1_lT2_lllSA_lllT3_lll
; %bb.0:
	s_endpgm
	.section	.rodata,"a",@progbits
	.p2align	6, 0x0
	.amdhsa_kernel _ZL26rocblas_sger_gfx942_kernelILi256E19rocblas_complex_numIfEPKS1_PKS3_PKPS1_EviiT1_lT2_lllSA_lllT3_lll
		.amdhsa_group_segment_fixed_size 0
		.amdhsa_private_segment_fixed_size 0
		.amdhsa_kernarg_size 120
		.amdhsa_user_sgpr_count 2
		.amdhsa_user_sgpr_dispatch_ptr 0
		.amdhsa_user_sgpr_queue_ptr 0
		.amdhsa_user_sgpr_kernarg_segment_ptr 1
		.amdhsa_user_sgpr_dispatch_id 0
		.amdhsa_user_sgpr_kernarg_preload_length 0
		.amdhsa_user_sgpr_kernarg_preload_offset 0
		.amdhsa_user_sgpr_private_segment_size 0
		.amdhsa_wavefront_size32 1
		.amdhsa_uses_dynamic_stack 0
		.amdhsa_enable_private_segment 0
		.amdhsa_system_sgpr_workgroup_id_x 1
		.amdhsa_system_sgpr_workgroup_id_y 0
		.amdhsa_system_sgpr_workgroup_id_z 0
		.amdhsa_system_sgpr_workgroup_info 0
		.amdhsa_system_vgpr_workitem_id 0
		.amdhsa_next_free_vgpr 1
		.amdhsa_next_free_sgpr 1
		.amdhsa_named_barrier_count 0
		.amdhsa_reserve_vcc 0
		.amdhsa_float_round_mode_32 0
		.amdhsa_float_round_mode_16_64 0
		.amdhsa_float_denorm_mode_32 3
		.amdhsa_float_denorm_mode_16_64 3
		.amdhsa_fp16_overflow 0
		.amdhsa_memory_ordered 1
		.amdhsa_forward_progress 1
		.amdhsa_inst_pref_size 1
		.amdhsa_round_robin_scheduling 0
		.amdhsa_exception_fp_ieee_invalid_op 0
		.amdhsa_exception_fp_denorm_src 0
		.amdhsa_exception_fp_ieee_div_zero 0
		.amdhsa_exception_fp_ieee_overflow 0
		.amdhsa_exception_fp_ieee_underflow 0
		.amdhsa_exception_fp_ieee_inexact 0
		.amdhsa_exception_int_div_zero 0
	.end_amdhsa_kernel
	.section	.text._ZL26rocblas_sger_gfx942_kernelILi256E19rocblas_complex_numIfEPKS1_PKS3_PKPS1_EviiT1_lT2_lllSA_lllT3_lll,"axG",@progbits,_ZL26rocblas_sger_gfx942_kernelILi256E19rocblas_complex_numIfEPKS1_PKS3_PKPS1_EviiT1_lT2_lllSA_lllT3_lll,comdat
.Lfunc_end49:
	.size	_ZL26rocblas_sger_gfx942_kernelILi256E19rocblas_complex_numIfEPKS1_PKS3_PKPS1_EviiT1_lT2_lllSA_lllT3_lll, .Lfunc_end49-_ZL26rocblas_sger_gfx942_kernelILi256E19rocblas_complex_numIfEPKS1_PKS3_PKPS1_EviiT1_lT2_lllSA_lllT3_lll
                                        ; -- End function
	.set _ZL26rocblas_sger_gfx942_kernelILi256E19rocblas_complex_numIfEPKS1_PKS3_PKPS1_EviiT1_lT2_lllSA_lllT3_lll.num_vgpr, 0
	.set _ZL26rocblas_sger_gfx942_kernelILi256E19rocblas_complex_numIfEPKS1_PKS3_PKPS1_EviiT1_lT2_lllSA_lllT3_lll.num_agpr, 0
	.set _ZL26rocblas_sger_gfx942_kernelILi256E19rocblas_complex_numIfEPKS1_PKS3_PKPS1_EviiT1_lT2_lllSA_lllT3_lll.numbered_sgpr, 0
	.set _ZL26rocblas_sger_gfx942_kernelILi256E19rocblas_complex_numIfEPKS1_PKS3_PKPS1_EviiT1_lT2_lllSA_lllT3_lll.num_named_barrier, 0
	.set _ZL26rocblas_sger_gfx942_kernelILi256E19rocblas_complex_numIfEPKS1_PKS3_PKPS1_EviiT1_lT2_lllSA_lllT3_lll.private_seg_size, 0
	.set _ZL26rocblas_sger_gfx942_kernelILi256E19rocblas_complex_numIfEPKS1_PKS3_PKPS1_EviiT1_lT2_lllSA_lllT3_lll.uses_vcc, 0
	.set _ZL26rocblas_sger_gfx942_kernelILi256E19rocblas_complex_numIfEPKS1_PKS3_PKPS1_EviiT1_lT2_lllSA_lllT3_lll.uses_flat_scratch, 0
	.set _ZL26rocblas_sger_gfx942_kernelILi256E19rocblas_complex_numIfEPKS1_PKS3_PKPS1_EviiT1_lT2_lllSA_lllT3_lll.has_dyn_sized_stack, 0
	.set _ZL26rocblas_sger_gfx942_kernelILi256E19rocblas_complex_numIfEPKS1_PKS3_PKPS1_EviiT1_lT2_lllSA_lllT3_lll.has_recursion, 0
	.set _ZL26rocblas_sger_gfx942_kernelILi256E19rocblas_complex_numIfEPKS1_PKS3_PKPS1_EviiT1_lT2_lllSA_lllT3_lll.has_indirect_call, 0
	.section	.AMDGPU.csdata,"",@progbits
; Kernel info:
; codeLenInByte = 4
; TotalNumSgprs: 0
; NumVgprs: 0
; ScratchSize: 0
; MemoryBound: 0
; FloatMode: 240
; IeeeMode: 1
; LDSByteSize: 0 bytes/workgroup (compile time only)
; SGPRBlocks: 0
; VGPRBlocks: 0
; NumSGPRsForWavesPerEU: 1
; NumVGPRsForWavesPerEU: 1
; NamedBarCnt: 0
; Occupancy: 16
; WaveLimiterHint : 0
; COMPUTE_PGM_RSRC2:SCRATCH_EN: 0
; COMPUTE_PGM_RSRC2:USER_SGPR: 2
; COMPUTE_PGM_RSRC2:TRAP_HANDLER: 0
; COMPUTE_PGM_RSRC2:TGID_X_EN: 1
; COMPUTE_PGM_RSRC2:TGID_Y_EN: 0
; COMPUTE_PGM_RSRC2:TGID_Z_EN: 0
; COMPUTE_PGM_RSRC2:TIDIG_COMP_CNT: 0
	.section	.text._ZL26rocblas_sger_gfx942_kernelILi256E19rocblas_complex_numIfES1_PKPKS1_PKPS1_EviiT1_lT2_lllSA_lllT3_lll,"axG",@progbits,_ZL26rocblas_sger_gfx942_kernelILi256E19rocblas_complex_numIfES1_PKPKS1_PKPS1_EviiT1_lT2_lllSA_lllT3_lll,comdat
	.globl	_ZL26rocblas_sger_gfx942_kernelILi256E19rocblas_complex_numIfES1_PKPKS1_PKPS1_EviiT1_lT2_lllSA_lllT3_lll ; -- Begin function _ZL26rocblas_sger_gfx942_kernelILi256E19rocblas_complex_numIfES1_PKPKS1_PKPS1_EviiT1_lT2_lllSA_lllT3_lll
	.p2align	8
	.type	_ZL26rocblas_sger_gfx942_kernelILi256E19rocblas_complex_numIfES1_PKPKS1_PKPS1_EviiT1_lT2_lllSA_lllT3_lll,@function
_ZL26rocblas_sger_gfx942_kernelILi256E19rocblas_complex_numIfES1_PKPKS1_PKPS1_EviiT1_lT2_lllSA_lllT3_lll: ; @_ZL26rocblas_sger_gfx942_kernelILi256E19rocblas_complex_numIfES1_PKPKS1_PKPS1_EviiT1_lT2_lllSA_lllT3_lll
; %bb.0:
	s_endpgm
	.section	.rodata,"a",@progbits
	.p2align	6, 0x0
	.amdhsa_kernel _ZL26rocblas_sger_gfx942_kernelILi256E19rocblas_complex_numIfES1_PKPKS1_PKPS1_EviiT1_lT2_lllSA_lllT3_lll
		.amdhsa_group_segment_fixed_size 0
		.amdhsa_private_segment_fixed_size 0
		.amdhsa_kernarg_size 120
		.amdhsa_user_sgpr_count 2
		.amdhsa_user_sgpr_dispatch_ptr 0
		.amdhsa_user_sgpr_queue_ptr 0
		.amdhsa_user_sgpr_kernarg_segment_ptr 1
		.amdhsa_user_sgpr_dispatch_id 0
		.amdhsa_user_sgpr_kernarg_preload_length 0
		.amdhsa_user_sgpr_kernarg_preload_offset 0
		.amdhsa_user_sgpr_private_segment_size 0
		.amdhsa_wavefront_size32 1
		.amdhsa_uses_dynamic_stack 0
		.amdhsa_enable_private_segment 0
		.amdhsa_system_sgpr_workgroup_id_x 1
		.amdhsa_system_sgpr_workgroup_id_y 0
		.amdhsa_system_sgpr_workgroup_id_z 0
		.amdhsa_system_sgpr_workgroup_info 0
		.amdhsa_system_vgpr_workitem_id 0
		.amdhsa_next_free_vgpr 1
		.amdhsa_next_free_sgpr 1
		.amdhsa_named_barrier_count 0
		.amdhsa_reserve_vcc 0
		.amdhsa_float_round_mode_32 0
		.amdhsa_float_round_mode_16_64 0
		.amdhsa_float_denorm_mode_32 3
		.amdhsa_float_denorm_mode_16_64 3
		.amdhsa_fp16_overflow 0
		.amdhsa_memory_ordered 1
		.amdhsa_forward_progress 1
		.amdhsa_inst_pref_size 1
		.amdhsa_round_robin_scheduling 0
		.amdhsa_exception_fp_ieee_invalid_op 0
		.amdhsa_exception_fp_denorm_src 0
		.amdhsa_exception_fp_ieee_div_zero 0
		.amdhsa_exception_fp_ieee_overflow 0
		.amdhsa_exception_fp_ieee_underflow 0
		.amdhsa_exception_fp_ieee_inexact 0
		.amdhsa_exception_int_div_zero 0
	.end_amdhsa_kernel
	.section	.text._ZL26rocblas_sger_gfx942_kernelILi256E19rocblas_complex_numIfES1_PKPKS1_PKPS1_EviiT1_lT2_lllSA_lllT3_lll,"axG",@progbits,_ZL26rocblas_sger_gfx942_kernelILi256E19rocblas_complex_numIfES1_PKPKS1_PKPS1_EviiT1_lT2_lllSA_lllT3_lll,comdat
.Lfunc_end50:
	.size	_ZL26rocblas_sger_gfx942_kernelILi256E19rocblas_complex_numIfES1_PKPKS1_PKPS1_EviiT1_lT2_lllSA_lllT3_lll, .Lfunc_end50-_ZL26rocblas_sger_gfx942_kernelILi256E19rocblas_complex_numIfES1_PKPKS1_PKPS1_EviiT1_lT2_lllSA_lllT3_lll
                                        ; -- End function
	.set _ZL26rocblas_sger_gfx942_kernelILi256E19rocblas_complex_numIfES1_PKPKS1_PKPS1_EviiT1_lT2_lllSA_lllT3_lll.num_vgpr, 0
	.set _ZL26rocblas_sger_gfx942_kernelILi256E19rocblas_complex_numIfES1_PKPKS1_PKPS1_EviiT1_lT2_lllSA_lllT3_lll.num_agpr, 0
	.set _ZL26rocblas_sger_gfx942_kernelILi256E19rocblas_complex_numIfES1_PKPKS1_PKPS1_EviiT1_lT2_lllSA_lllT3_lll.numbered_sgpr, 0
	.set _ZL26rocblas_sger_gfx942_kernelILi256E19rocblas_complex_numIfES1_PKPKS1_PKPS1_EviiT1_lT2_lllSA_lllT3_lll.num_named_barrier, 0
	.set _ZL26rocblas_sger_gfx942_kernelILi256E19rocblas_complex_numIfES1_PKPKS1_PKPS1_EviiT1_lT2_lllSA_lllT3_lll.private_seg_size, 0
	.set _ZL26rocblas_sger_gfx942_kernelILi256E19rocblas_complex_numIfES1_PKPKS1_PKPS1_EviiT1_lT2_lllSA_lllT3_lll.uses_vcc, 0
	.set _ZL26rocblas_sger_gfx942_kernelILi256E19rocblas_complex_numIfES1_PKPKS1_PKPS1_EviiT1_lT2_lllSA_lllT3_lll.uses_flat_scratch, 0
	.set _ZL26rocblas_sger_gfx942_kernelILi256E19rocblas_complex_numIfES1_PKPKS1_PKPS1_EviiT1_lT2_lllSA_lllT3_lll.has_dyn_sized_stack, 0
	.set _ZL26rocblas_sger_gfx942_kernelILi256E19rocblas_complex_numIfES1_PKPKS1_PKPS1_EviiT1_lT2_lllSA_lllT3_lll.has_recursion, 0
	.set _ZL26rocblas_sger_gfx942_kernelILi256E19rocblas_complex_numIfES1_PKPKS1_PKPS1_EviiT1_lT2_lllSA_lllT3_lll.has_indirect_call, 0
	.section	.AMDGPU.csdata,"",@progbits
; Kernel info:
; codeLenInByte = 4
; TotalNumSgprs: 0
; NumVgprs: 0
; ScratchSize: 0
; MemoryBound: 0
; FloatMode: 240
; IeeeMode: 1
; LDSByteSize: 0 bytes/workgroup (compile time only)
; SGPRBlocks: 0
; VGPRBlocks: 0
; NumSGPRsForWavesPerEU: 1
; NumVGPRsForWavesPerEU: 1
; NamedBarCnt: 0
; Occupancy: 16
; WaveLimiterHint : 0
; COMPUTE_PGM_RSRC2:SCRATCH_EN: 0
; COMPUTE_PGM_RSRC2:USER_SGPR: 2
; COMPUTE_PGM_RSRC2:TRAP_HANDLER: 0
; COMPUTE_PGM_RSRC2:TGID_X_EN: 1
; COMPUTE_PGM_RSRC2:TGID_Y_EN: 0
; COMPUTE_PGM_RSRC2:TGID_Z_EN: 0
; COMPUTE_PGM_RSRC2:TIDIG_COMP_CNT: 0
	.section	.text._ZL19rocblas_sger_kernelILi1024E19rocblas_complex_numIfEPKS1_PKS3_PKPS1_EviiT1_lT2_lllSA_lllT3_lmli,"axG",@progbits,_ZL19rocblas_sger_kernelILi1024E19rocblas_complex_numIfEPKS1_PKS3_PKPS1_EviiT1_lT2_lllSA_lllT3_lmli,comdat
	.globl	_ZL19rocblas_sger_kernelILi1024E19rocblas_complex_numIfEPKS1_PKS3_PKPS1_EviiT1_lT2_lllSA_lllT3_lmli ; -- Begin function _ZL19rocblas_sger_kernelILi1024E19rocblas_complex_numIfEPKS1_PKS3_PKPS1_EviiT1_lT2_lllSA_lllT3_lmli
	.p2align	8
	.type	_ZL19rocblas_sger_kernelILi1024E19rocblas_complex_numIfEPKS1_PKS3_PKPS1_EviiT1_lT2_lllSA_lllT3_lmli,@function
_ZL19rocblas_sger_kernelILi1024E19rocblas_complex_numIfEPKS1_PKS3_PKPS1_EviiT1_lT2_lllSA_lllT3_lmli: ; @_ZL19rocblas_sger_kernelILi1024E19rocblas_complex_numIfEPKS1_PKS3_PKPS1_EviiT1_lT2_lllSA_lllT3_lmli
; %bb.0:
	s_load_b32 s24, s[0:1], 0x78
	s_bfe_u32 s2, ttmp6, 0x40014
	s_lshr_b32 s3, ttmp7, 16
	s_add_co_i32 s2, s2, 1
	s_bfe_u32 s4, ttmp6, 0x40008
	s_mul_i32 s2, s3, s2
	s_getreg_b32 s18, hwreg(HW_REG_IB_STS2, 6, 4)
	s_add_co_i32 s4, s4, s2
	s_cmp_eq_u32 s18, 0
	s_cselect_b32 s2, s3, s4
	s_mov_b32 s3, 0
	s_wait_kmcnt 0x0
	s_cmp_ge_u32 s2, s24
	s_cbranch_scc1 .LBB51_8
; %bb.1:
	s_clause 0x7
	s_load_b32 s25, s[0:1], 0x0
	s_load_b128 s[20:23], s[0:1], 0x60
	s_load_b128 s[28:31], s[0:1], 0x40
	s_load_b64 s[12:13], s[0:1], 0x18
	s_load_b64 s[14:15], s[0:1], 0x58
	;; [unrolled: 1-line block ×3, first 2 shown]
	s_load_b128 s[8:11], s[0:1], 0x20
	s_load_b128 s[4:7], s[0:1], 0x8
	s_bfe_u32 s19, ttmp6, 0x4000c
	s_wait_xcnt 0x0
	s_and_b32 s0, ttmp6, 15
	s_add_co_i32 s19, s19, 1
	s_delay_alu instid0(SALU_CYCLE_1) | instskip(NEXT) | instid1(SALU_CYCLE_1)
	s_mul_i32 s1, ttmp9, s19
	s_add_co_i32 s0, s0, s1
	s_cmp_eq_u32 s18, 0
	s_cselect_b32 s26, ttmp9, s0
	s_delay_alu instid0(SALU_CYCLE_1)
	s_ashr_i32 s27, s26, 31
	s_wait_kmcnt 0x0
	v_cmp_gt_i32_e64 s0, s25, v0
	v_mov_b32_e32 v3, 0
	s_mul_u64 s[18:19], s[22:23], s[26:27]
	s_mul_u64 s[22:23], s[30:31], s[26:27]
	s_lshl_b64 s[20:21], s[20:21], 3
	s_delay_alu instid0(VALU_DEP_1) | instskip(SKIP_3) | instid1(VALU_DEP_1)
	v_dual_cndmask_b32 v2, 0, v0, s0 :: v_dual_mov_b32 v1, v3
	s_lshl_b64 s[26:27], s[8:9], 3
	s_lshl_b64 s[8:9], s[10:11], 13
	;; [unrolled: 1-line block ×3, first 2 shown]
	v_lshlrev_b32_e32 v2, 3, v2
	v_mul_u64_e32 v[4:5], s[10:11], v[0:1]
	s_lshl_b64 s[10:11], s[28:29], 3
	s_delay_alu instid0(VALU_DEP_1)
	v_lshl_add_u64 v[4:5], v[4:5], 3, s[26:27]
	s_branch .LBB51_4
.LBB51_2:                               ;   in Loop: Header=BB51_4 Depth=1
	s_or_b32 exec_lo, exec_lo, s1
.LBB51_3:                               ;   in Loop: Header=BB51_4 Depth=1
	s_add_co_i32 s2, s2, 0x10000
	s_delay_alu instid0(SALU_CYCLE_1)
	s_cmp_lt_u32 s2, s24
	s_cbranch_scc0 .LBB51_8
.LBB51_4:                               ; =>This Loop Header: Depth=1
                                        ;     Child Loop BB51_7 Depth 2
	s_wait_xcnt 0x0
	s_mul_u64 s[26:27], s[6:7], s[2:3]
	s_delay_alu instid0(SALU_CYCLE_1) | instskip(NEXT) | instid1(SALU_CYCLE_1)
	s_lshl_b64 s[26:27], s[26:27], 3
	s_add_nc_u64 s[26:27], s[4:5], s[26:27]
	global_load_b64 v[8:9], v3, s[26:27]
	s_wait_loadcnt 0x0
	v_cmp_neq_f32_e32 vcc_lo, 0, v8
	v_cmp_neq_f32_e64 s1, 0, v9
	s_or_b32 s1, vcc_lo, s1
	s_delay_alu instid0(SALU_CYCLE_1)
	s_and_not1_b32 vcc_lo, exec_lo, s1
	s_cbranch_vccnz .LBB51_3
; %bb.5:                                ;   in Loop: Header=BB51_4 Depth=1
	s_wait_xcnt 0x0
	s_and_saveexec_b32 s1, s0
	s_cbranch_execz .LBB51_2
; %bb.6:                                ;   in Loop: Header=BB51_4 Depth=1
	s_lshl_b64 s[26:27], s[2:3], 3
	s_delay_alu instid0(SALU_CYCLE_1) | instskip(SKIP_4) | instid1(SALU_CYCLE_1)
	s_add_nc_u64 s[28:29], s[16:17], s[26:27]
	s_load_b64 s[28:29], s[28:29], 0x0
	s_wait_kmcnt 0x0
	s_wait_xcnt 0x0
	s_add_nc_u64 s[28:29], s[28:29], s[10:11]
	s_add_nc_u64 s[28:29], s[28:29], s[22:23]
	flat_load_b64 v[10:11], v3, s[28:29]
	s_wait_xcnt 0x0
	s_add_nc_u64 s[28:29], s[14:15], s[26:27]
	s_add_nc_u64 s[26:27], s[12:13], s[26:27]
	s_load_b64 s[28:29], s[28:29], 0x0
	s_wait_kmcnt 0x0
	s_wait_xcnt 0x0
	s_add_nc_u64 s[28:29], s[28:29], s[20:21]
	s_load_b64 s[26:27], s[26:27], 0x0
	v_add_nc_u64_e32 v[12:13], s[28:29], v[2:3]
	s_delay_alu instid0(VALU_DEP_1) | instskip(SKIP_2) | instid1(VALU_DEP_1)
	v_lshl_add_u64 v[12:13], s[18:19], 3, v[12:13]
	s_wait_loadcnt_dscnt 0x0
	v_dual_mul_f32 v6, v8, v11 :: v_dual_mul_f32 v1, v9, v11
	v_dual_fmac_f32 v6, v9, v10 :: v_dual_fma_f32 v8, v8, v10, -v1
	s_wait_kmcnt 0x0
	v_add_nc_u64_e32 v[10:11], s[26:27], v[4:5]
	v_mov_b32_e32 v1, v0
	s_wait_xcnt 0x0
	s_mov_b32 s26, 0
	v_dual_mov_b32 v7, v6 :: v_dual_mov_b32 v9, v8
.LBB51_7:                               ;   Parent Loop BB51_4 Depth=1
                                        ; =>  This Inner Loop Header: Depth=2
	flat_load_b64 v[14:15], v[10:11]
	flat_load_b64 v[16:17], v[12:13]
	v_add_nc_u32_e32 v1, 0x400, v1
	s_wait_xcnt 0x1
	v_add_nc_u64_e32 v[10:11], s[8:9], v[10:11]
	s_delay_alu instid0(VALU_DEP_2) | instskip(SKIP_3) | instid1(VALU_DEP_1)
	v_cmp_le_i32_e32 vcc_lo, s25, v1
	s_or_b32 s26, vcc_lo, s26
	s_wait_loadcnt_dscnt 0x101
	v_pk_mul_f32 v[18:19], v[6:7], v[14:15] op_sel:[0,1] op_sel_hi:[1,0]
	v_pk_fma_f32 v[20:21], v[8:9], v[14:15], v[18:19]
	v_pk_fma_f32 v[14:15], v[8:9], v[14:15], v[18:19] neg_lo:[0,0,1] neg_hi:[0,0,1]
	s_delay_alu instid0(VALU_DEP_2) | instskip(SKIP_1) | instid1(VALU_DEP_1)
	v_mov_b32_e32 v15, v21
	s_wait_loadcnt_dscnt 0x0
	v_pk_add_f32 v[14:15], v[16:17], v[14:15]
	flat_store_b64 v[12:13], v[14:15]
	s_wait_xcnt 0x0
	v_add_nc_u64_e32 v[12:13], 0x2000, v[12:13]
	s_and_not1_b32 exec_lo, exec_lo, s26
	s_cbranch_execnz .LBB51_7
	s_branch .LBB51_2
.LBB51_8:
	s_endpgm
	.section	.rodata,"a",@progbits
	.p2align	6, 0x0
	.amdhsa_kernel _ZL19rocblas_sger_kernelILi1024E19rocblas_complex_numIfEPKS1_PKS3_PKPS1_EviiT1_lT2_lllSA_lllT3_lmli
		.amdhsa_group_segment_fixed_size 0
		.amdhsa_private_segment_fixed_size 0
		.amdhsa_kernarg_size 124
		.amdhsa_user_sgpr_count 2
		.amdhsa_user_sgpr_dispatch_ptr 0
		.amdhsa_user_sgpr_queue_ptr 0
		.amdhsa_user_sgpr_kernarg_segment_ptr 1
		.amdhsa_user_sgpr_dispatch_id 0
		.amdhsa_user_sgpr_kernarg_preload_length 0
		.amdhsa_user_sgpr_kernarg_preload_offset 0
		.amdhsa_user_sgpr_private_segment_size 0
		.amdhsa_wavefront_size32 1
		.amdhsa_uses_dynamic_stack 0
		.amdhsa_enable_private_segment 0
		.amdhsa_system_sgpr_workgroup_id_x 1
		.amdhsa_system_sgpr_workgroup_id_y 0
		.amdhsa_system_sgpr_workgroup_id_z 1
		.amdhsa_system_sgpr_workgroup_info 0
		.amdhsa_system_vgpr_workitem_id 0
		.amdhsa_next_free_vgpr 22
		.amdhsa_next_free_sgpr 32
		.amdhsa_named_barrier_count 0
		.amdhsa_reserve_vcc 1
		.amdhsa_float_round_mode_32 0
		.amdhsa_float_round_mode_16_64 0
		.amdhsa_float_denorm_mode_32 3
		.amdhsa_float_denorm_mode_16_64 3
		.amdhsa_fp16_overflow 0
		.amdhsa_memory_ordered 1
		.amdhsa_forward_progress 1
		.amdhsa_inst_pref_size 6
		.amdhsa_round_robin_scheduling 0
		.amdhsa_exception_fp_ieee_invalid_op 0
		.amdhsa_exception_fp_denorm_src 0
		.amdhsa_exception_fp_ieee_div_zero 0
		.amdhsa_exception_fp_ieee_overflow 0
		.amdhsa_exception_fp_ieee_underflow 0
		.amdhsa_exception_fp_ieee_inexact 0
		.amdhsa_exception_int_div_zero 0
	.end_amdhsa_kernel
	.section	.text._ZL19rocblas_sger_kernelILi1024E19rocblas_complex_numIfEPKS1_PKS3_PKPS1_EviiT1_lT2_lllSA_lllT3_lmli,"axG",@progbits,_ZL19rocblas_sger_kernelILi1024E19rocblas_complex_numIfEPKS1_PKS3_PKPS1_EviiT1_lT2_lllSA_lllT3_lmli,comdat
.Lfunc_end51:
	.size	_ZL19rocblas_sger_kernelILi1024E19rocblas_complex_numIfEPKS1_PKS3_PKPS1_EviiT1_lT2_lllSA_lllT3_lmli, .Lfunc_end51-_ZL19rocblas_sger_kernelILi1024E19rocblas_complex_numIfEPKS1_PKS3_PKPS1_EviiT1_lT2_lllSA_lllT3_lmli
                                        ; -- End function
	.set _ZL19rocblas_sger_kernelILi1024E19rocblas_complex_numIfEPKS1_PKS3_PKPS1_EviiT1_lT2_lllSA_lllT3_lmli.num_vgpr, 22
	.set _ZL19rocblas_sger_kernelILi1024E19rocblas_complex_numIfEPKS1_PKS3_PKPS1_EviiT1_lT2_lllSA_lllT3_lmli.num_agpr, 0
	.set _ZL19rocblas_sger_kernelILi1024E19rocblas_complex_numIfEPKS1_PKS3_PKPS1_EviiT1_lT2_lllSA_lllT3_lmli.numbered_sgpr, 32
	.set _ZL19rocblas_sger_kernelILi1024E19rocblas_complex_numIfEPKS1_PKS3_PKPS1_EviiT1_lT2_lllSA_lllT3_lmli.num_named_barrier, 0
	.set _ZL19rocblas_sger_kernelILi1024E19rocblas_complex_numIfEPKS1_PKS3_PKPS1_EviiT1_lT2_lllSA_lllT3_lmli.private_seg_size, 0
	.set _ZL19rocblas_sger_kernelILi1024E19rocblas_complex_numIfEPKS1_PKS3_PKPS1_EviiT1_lT2_lllSA_lllT3_lmli.uses_vcc, 1
	.set _ZL19rocblas_sger_kernelILi1024E19rocblas_complex_numIfEPKS1_PKS3_PKPS1_EviiT1_lT2_lllSA_lllT3_lmli.uses_flat_scratch, 0
	.set _ZL19rocblas_sger_kernelILi1024E19rocblas_complex_numIfEPKS1_PKS3_PKPS1_EviiT1_lT2_lllSA_lllT3_lmli.has_dyn_sized_stack, 0
	.set _ZL19rocblas_sger_kernelILi1024E19rocblas_complex_numIfEPKS1_PKS3_PKPS1_EviiT1_lT2_lllSA_lllT3_lmli.has_recursion, 0
	.set _ZL19rocblas_sger_kernelILi1024E19rocblas_complex_numIfEPKS1_PKS3_PKPS1_EviiT1_lT2_lllSA_lllT3_lmli.has_indirect_call, 0
	.section	.AMDGPU.csdata,"",@progbits
; Kernel info:
; codeLenInByte = 668
; TotalNumSgprs: 34
; NumVgprs: 22
; ScratchSize: 0
; MemoryBound: 0
; FloatMode: 240
; IeeeMode: 1
; LDSByteSize: 0 bytes/workgroup (compile time only)
; SGPRBlocks: 0
; VGPRBlocks: 1
; NumSGPRsForWavesPerEU: 34
; NumVGPRsForWavesPerEU: 22
; NamedBarCnt: 0
; Occupancy: 16
; WaveLimiterHint : 1
; COMPUTE_PGM_RSRC2:SCRATCH_EN: 0
; COMPUTE_PGM_RSRC2:USER_SGPR: 2
; COMPUTE_PGM_RSRC2:TRAP_HANDLER: 0
; COMPUTE_PGM_RSRC2:TGID_X_EN: 1
; COMPUTE_PGM_RSRC2:TGID_Y_EN: 0
; COMPUTE_PGM_RSRC2:TGID_Z_EN: 1
; COMPUTE_PGM_RSRC2:TIDIG_COMP_CNT: 0
	.section	.text._ZL19rocblas_sger_kernelILi1024E19rocblas_complex_numIfES1_PKPKS1_PKPS1_EviiT1_lT2_lllSA_lllT3_lmli,"axG",@progbits,_ZL19rocblas_sger_kernelILi1024E19rocblas_complex_numIfES1_PKPKS1_PKPS1_EviiT1_lT2_lllSA_lllT3_lmli,comdat
	.globl	_ZL19rocblas_sger_kernelILi1024E19rocblas_complex_numIfES1_PKPKS1_PKPS1_EviiT1_lT2_lllSA_lllT3_lmli ; -- Begin function _ZL19rocblas_sger_kernelILi1024E19rocblas_complex_numIfES1_PKPKS1_PKPS1_EviiT1_lT2_lllSA_lllT3_lmli
	.p2align	8
	.type	_ZL19rocblas_sger_kernelILi1024E19rocblas_complex_numIfES1_PKPKS1_PKPS1_EviiT1_lT2_lllSA_lllT3_lmli,@function
_ZL19rocblas_sger_kernelILi1024E19rocblas_complex_numIfES1_PKPKS1_PKPS1_EviiT1_lT2_lllSA_lllT3_lmli: ; @_ZL19rocblas_sger_kernelILi1024E19rocblas_complex_numIfES1_PKPKS1_PKPS1_EviiT1_lT2_lllSA_lllT3_lmli
; %bb.0:
	s_load_b32 s20, s[0:1], 0x78
	s_bfe_u32 s2, ttmp6, 0x40014
	s_lshr_b32 s3, ttmp7, 16
	s_add_co_i32 s2, s2, 1
	s_bfe_u32 s4, ttmp6, 0x40008
	s_mul_i32 s2, s3, s2
	s_getreg_b32 s14, hwreg(HW_REG_IB_STS2, 6, 4)
	s_add_co_i32 s4, s4, s2
	s_cmp_eq_u32 s14, 0
	s_cselect_b32 s21, s3, s4
	s_wait_kmcnt 0x0
	s_cmp_ge_u32 s21, s20
	s_cbranch_scc1 .LBB52_8
; %bb.1:
	s_clause 0x7
	s_load_b32 s22, s[0:1], 0x0
	s_load_b128 s[4:7], s[0:1], 0x20
	s_load_b64 s[2:3], s[0:1], 0x8
	s_load_b128 s[16:19], s[0:1], 0x40
	s_load_b128 s[24:27], s[0:1], 0x60
	s_load_b64 s[8:9], s[0:1], 0x38
	s_load_b64 s[10:11], s[0:1], 0x18
	;; [unrolled: 1-line block ×3, first 2 shown]
	s_wait_kmcnt 0x0
	v_cmp_gt_i32_e64 s0, s22, v0
	v_mov_b32_e32 v3, 0
	s_cmp_neq_f32 s2, 0
	s_delay_alu instid0(VALU_DEP_1) | instskip(SKIP_2) | instid1(VALU_DEP_1)
	v_dual_cndmask_b32 v2, 0, v0, s0 :: v_dual_mov_b32 v1, v3
	s_cselect_b32 s15, -1, 0
	s_cmp_neq_f32 s3, 0
	v_lshlrev_b32_e32 v2, 3, v2
	s_delay_alu instid0(VALU_DEP_2)
	v_mul_u64_e32 v[4:5], s[6:7], v[0:1]
	s_cselect_b32 s1, -1, 0
	s_bfe_u32 s23, ttmp6, 0x4000c
	s_and_b32 s28, ttmp6, 15
	s_add_co_i32 s23, s23, 1
	s_or_b32 s1, s15, s1
	s_mul_i32 s23, ttmp9, s23
	s_delay_alu instid0(SALU_CYCLE_1)
	s_add_co_i32 s28, s28, s23
	s_cmp_eq_u32 s14, 0
	s_cselect_b32 s14, ttmp9, s28
	s_lshl_b64 s[28:29], s[4:5], 3
	s_ashr_i32 s15, s14, 31
	s_lshl_b64 s[4:5], s[6:7], 13
	s_mul_u64 s[18:19], s[18:19], s[14:15]
	s_mul_u64 s[6:7], s[26:27], s[14:15]
	s_lshl_b64 s[14:15], s[16:17], 3
	s_lshl_b64 s[16:17], s[24:25], 3
	;; [unrolled: 1-line block ×3, first 2 shown]
	s_delay_alu instid0(VALU_DEP_1)
	v_lshl_add_u64 v[4:5], v[4:5], 3, s[28:29]
	s_branch .LBB52_4
.LBB52_2:                               ;   in Loop: Header=BB52_4 Depth=1
	s_or_b32 exec_lo, exec_lo, s23
.LBB52_3:                               ;   in Loop: Header=BB52_4 Depth=1
	s_add_co_i32 s21, s21, 0x10000
	s_delay_alu instid0(SALU_CYCLE_1)
	s_cmp_lt_u32 s21, s20
	s_cbranch_scc0 .LBB52_8
.LBB52_4:                               ; =>This Loop Header: Depth=1
                                        ;     Child Loop BB52_7 Depth 2
	s_and_not1_b32 vcc_lo, exec_lo, s1
	s_cbranch_vccnz .LBB52_3
; %bb.5:                                ;   in Loop: Header=BB52_4 Depth=1
	s_and_saveexec_b32 s23, s0
	s_cbranch_execz .LBB52_2
; %bb.6:                                ;   in Loop: Header=BB52_4 Depth=1
	s_load_b64 s[24:25], s[8:9], s21 offset:0x0 scale_offset
	s_wait_kmcnt 0x0
	s_add_nc_u64 s[24:25], s[24:25], s[14:15]
	s_delay_alu instid0(SALU_CYCLE_1)
	s_add_nc_u64 s[24:25], s[24:25], s[18:19]
	flat_load_b64 v[8:9], v3, s[24:25]
	s_wait_xcnt 0x0
	s_load_b64 s[24:25], s[12:13], s21 offset:0x0 scale_offset
	s_load_b64 s[26:27], s[10:11], s21 offset:0x0 scale_offset
	s_wait_kmcnt 0x0
	s_add_nc_u64 s[24:25], s[24:25], s[16:17]
	v_add_nc_u64_e32 v[10:11], s[26:27], v[4:5]
	v_add_nc_u64_e32 v[12:13], s[24:25], v[2:3]
	s_mov_b32 s24, 0
	s_delay_alu instid0(VALU_DEP_1) | instskip(SKIP_2) | instid1(VALU_DEP_1)
	v_lshl_add_u64 v[12:13], s[6:7], 3, v[12:13]
	s_wait_loadcnt_dscnt 0x0
	v_dual_mul_f32 v6, s2, v9 :: v_dual_mul_f32 v1, s3, v9
	v_dual_fmac_f32 v6, s3, v8 :: v_dual_fma_f32 v8, s2, v8, -v1
	s_delay_alu instid0(VALU_DEP_1) | instskip(NEXT) | instid1(VALU_DEP_2)
	v_dual_mov_b32 v1, v0 :: v_dual_mov_b32 v7, v6
	v_mov_b32_e32 v9, v8
.LBB52_7:                               ;   Parent Loop BB52_4 Depth=1
                                        ; =>  This Inner Loop Header: Depth=2
	flat_load_b64 v[14:15], v[10:11]
	flat_load_b64 v[16:17], v[12:13]
	v_add_nc_u32_e32 v1, 0x400, v1
	s_wait_xcnt 0x1
	v_add_nc_u64_e32 v[10:11], s[4:5], v[10:11]
	s_delay_alu instid0(VALU_DEP_2) | instskip(SKIP_3) | instid1(VALU_DEP_1)
	v_cmp_le_i32_e32 vcc_lo, s22, v1
	s_or_b32 s24, vcc_lo, s24
	s_wait_loadcnt_dscnt 0x101
	v_pk_mul_f32 v[18:19], v[6:7], v[14:15] op_sel:[0,1] op_sel_hi:[1,0]
	v_pk_fma_f32 v[20:21], v[8:9], v[14:15], v[18:19]
	v_pk_fma_f32 v[14:15], v[8:9], v[14:15], v[18:19] neg_lo:[0,0,1] neg_hi:[0,0,1]
	s_delay_alu instid0(VALU_DEP_2) | instskip(SKIP_1) | instid1(VALU_DEP_1)
	v_mov_b32_e32 v15, v21
	s_wait_loadcnt_dscnt 0x0
	v_pk_add_f32 v[14:15], v[16:17], v[14:15]
	flat_store_b64 v[12:13], v[14:15]
	s_wait_xcnt 0x0
	v_add_nc_u64_e32 v[12:13], 0x2000, v[12:13]
	s_and_not1_b32 exec_lo, exec_lo, s24
	s_cbranch_execnz .LBB52_7
	s_branch .LBB52_2
.LBB52_8:
	s_endpgm
	.section	.rodata,"a",@progbits
	.p2align	6, 0x0
	.amdhsa_kernel _ZL19rocblas_sger_kernelILi1024E19rocblas_complex_numIfES1_PKPKS1_PKPS1_EviiT1_lT2_lllSA_lllT3_lmli
		.amdhsa_group_segment_fixed_size 0
		.amdhsa_private_segment_fixed_size 0
		.amdhsa_kernarg_size 124
		.amdhsa_user_sgpr_count 2
		.amdhsa_user_sgpr_dispatch_ptr 0
		.amdhsa_user_sgpr_queue_ptr 0
		.amdhsa_user_sgpr_kernarg_segment_ptr 1
		.amdhsa_user_sgpr_dispatch_id 0
		.amdhsa_user_sgpr_kernarg_preload_length 0
		.amdhsa_user_sgpr_kernarg_preload_offset 0
		.amdhsa_user_sgpr_private_segment_size 0
		.amdhsa_wavefront_size32 1
		.amdhsa_uses_dynamic_stack 0
		.amdhsa_enable_private_segment 0
		.amdhsa_system_sgpr_workgroup_id_x 1
		.amdhsa_system_sgpr_workgroup_id_y 0
		.amdhsa_system_sgpr_workgroup_id_z 1
		.amdhsa_system_sgpr_workgroup_info 0
		.amdhsa_system_vgpr_workitem_id 0
		.amdhsa_next_free_vgpr 22
		.amdhsa_next_free_sgpr 30
		.amdhsa_named_barrier_count 0
		.amdhsa_reserve_vcc 1
		.amdhsa_float_round_mode_32 0
		.amdhsa_float_round_mode_16_64 0
		.amdhsa_float_denorm_mode_32 3
		.amdhsa_float_denorm_mode_16_64 3
		.amdhsa_fp16_overflow 0
		.amdhsa_memory_ordered 1
		.amdhsa_forward_progress 1
		.amdhsa_inst_pref_size 5
		.amdhsa_round_robin_scheduling 0
		.amdhsa_exception_fp_ieee_invalid_op 0
		.amdhsa_exception_fp_denorm_src 0
		.amdhsa_exception_fp_ieee_div_zero 0
		.amdhsa_exception_fp_ieee_overflow 0
		.amdhsa_exception_fp_ieee_underflow 0
		.amdhsa_exception_fp_ieee_inexact 0
		.amdhsa_exception_int_div_zero 0
	.end_amdhsa_kernel
	.section	.text._ZL19rocblas_sger_kernelILi1024E19rocblas_complex_numIfES1_PKPKS1_PKPS1_EviiT1_lT2_lllSA_lllT3_lmli,"axG",@progbits,_ZL19rocblas_sger_kernelILi1024E19rocblas_complex_numIfES1_PKPKS1_PKPS1_EviiT1_lT2_lllSA_lllT3_lmli,comdat
.Lfunc_end52:
	.size	_ZL19rocblas_sger_kernelILi1024E19rocblas_complex_numIfES1_PKPKS1_PKPS1_EviiT1_lT2_lllSA_lllT3_lmli, .Lfunc_end52-_ZL19rocblas_sger_kernelILi1024E19rocblas_complex_numIfES1_PKPKS1_PKPS1_EviiT1_lT2_lllSA_lllT3_lmli
                                        ; -- End function
	.set _ZL19rocblas_sger_kernelILi1024E19rocblas_complex_numIfES1_PKPKS1_PKPS1_EviiT1_lT2_lllSA_lllT3_lmli.num_vgpr, 22
	.set _ZL19rocblas_sger_kernelILi1024E19rocblas_complex_numIfES1_PKPKS1_PKPS1_EviiT1_lT2_lllSA_lllT3_lmli.num_agpr, 0
	.set _ZL19rocblas_sger_kernelILi1024E19rocblas_complex_numIfES1_PKPKS1_PKPS1_EviiT1_lT2_lllSA_lllT3_lmli.numbered_sgpr, 30
	.set _ZL19rocblas_sger_kernelILi1024E19rocblas_complex_numIfES1_PKPKS1_PKPS1_EviiT1_lT2_lllSA_lllT3_lmli.num_named_barrier, 0
	.set _ZL19rocblas_sger_kernelILi1024E19rocblas_complex_numIfES1_PKPKS1_PKPS1_EviiT1_lT2_lllSA_lllT3_lmli.private_seg_size, 0
	.set _ZL19rocblas_sger_kernelILi1024E19rocblas_complex_numIfES1_PKPKS1_PKPS1_EviiT1_lT2_lllSA_lllT3_lmli.uses_vcc, 1
	.set _ZL19rocblas_sger_kernelILi1024E19rocblas_complex_numIfES1_PKPKS1_PKPS1_EviiT1_lT2_lllSA_lllT3_lmli.uses_flat_scratch, 0
	.set _ZL19rocblas_sger_kernelILi1024E19rocblas_complex_numIfES1_PKPKS1_PKPS1_EviiT1_lT2_lllSA_lllT3_lmli.has_dyn_sized_stack, 0
	.set _ZL19rocblas_sger_kernelILi1024E19rocblas_complex_numIfES1_PKPKS1_PKPS1_EviiT1_lT2_lllSA_lllT3_lmli.has_recursion, 0
	.set _ZL19rocblas_sger_kernelILi1024E19rocblas_complex_numIfES1_PKPKS1_PKPS1_EviiT1_lT2_lllSA_lllT3_lmli.has_indirect_call, 0
	.section	.AMDGPU.csdata,"",@progbits
; Kernel info:
; codeLenInByte = 592
; TotalNumSgprs: 32
; NumVgprs: 22
; ScratchSize: 0
; MemoryBound: 0
; FloatMode: 240
; IeeeMode: 1
; LDSByteSize: 0 bytes/workgroup (compile time only)
; SGPRBlocks: 0
; VGPRBlocks: 1
; NumSGPRsForWavesPerEU: 32
; NumVGPRsForWavesPerEU: 22
; NamedBarCnt: 0
; Occupancy: 16
; WaveLimiterHint : 1
; COMPUTE_PGM_RSRC2:SCRATCH_EN: 0
; COMPUTE_PGM_RSRC2:USER_SGPR: 2
; COMPUTE_PGM_RSRC2:TRAP_HANDLER: 0
; COMPUTE_PGM_RSRC2:TGID_X_EN: 1
; COMPUTE_PGM_RSRC2:TGID_Y_EN: 0
; COMPUTE_PGM_RSRC2:TGID_Z_EN: 1
; COMPUTE_PGM_RSRC2:TIDIG_COMP_CNT: 0
	.section	.text._ZL18rocblas_ger_kernelILi32ELi32ELi2ELb0E19rocblas_complex_numIfEPKS1_PKS3_PKPS1_EviiT4_lT5_lllSA_lllT6_lmli,"axG",@progbits,_ZL18rocblas_ger_kernelILi32ELi32ELi2ELb0E19rocblas_complex_numIfEPKS1_PKS3_PKPS1_EviiT4_lT5_lllSA_lllT6_lmli,comdat
	.globl	_ZL18rocblas_ger_kernelILi32ELi32ELi2ELb0E19rocblas_complex_numIfEPKS1_PKS3_PKPS1_EviiT4_lT5_lllSA_lllT6_lmli ; -- Begin function _ZL18rocblas_ger_kernelILi32ELi32ELi2ELb0E19rocblas_complex_numIfEPKS1_PKS3_PKPS1_EviiT4_lT5_lllSA_lllT6_lmli
	.p2align	8
	.type	_ZL18rocblas_ger_kernelILi32ELi32ELi2ELb0E19rocblas_complex_numIfEPKS1_PKS3_PKPS1_EviiT4_lT5_lllSA_lllT6_lmli,@function
_ZL18rocblas_ger_kernelILi32ELi32ELi2ELb0E19rocblas_complex_numIfEPKS1_PKS3_PKPS1_EviiT4_lT5_lllSA_lllT6_lmli: ; @_ZL18rocblas_ger_kernelILi32ELi32ELi2ELb0E19rocblas_complex_numIfEPKS1_PKS3_PKPS1_EviiT4_lT5_lllSA_lllT6_lmli
; %bb.0:
	s_load_b32 s30, s[0:1], 0x78
	s_bfe_u32 s2, ttmp6, 0x40014
	s_lshr_b32 s3, ttmp7, 16
	s_add_co_i32 s2, s2, 1
	s_bfe_u32 s5, ttmp6, 0x40008
	s_mul_i32 s4, s3, s2
	s_getreg_b32 s2, hwreg(HW_REG_IB_STS2, 6, 4)
	s_add_co_i32 s5, s5, s4
	s_cmp_eq_u32 s2, 0
	s_mov_b32 s7, 0
	s_cselect_b32 s6, s3, s5
	s_wait_kmcnt 0x0
	s_cmp_ge_u32 s6, s30
	s_cbranch_scc1 .LBB53_18
; %bb.1:
	s_clause 0x1
	s_load_b64 s[4:5], s[0:1], 0x0
	s_load_b128 s[8:11], s[0:1], 0x8
	s_bfe_u32 s14, ttmp6, 0x4000c
	s_and_b32 s13, ttmp6, 15
	s_add_co_i32 s14, s14, 1
	v_bfe_u32 v16, v0, 10, 10
	s_mul_i32 s14, ttmp9, s14
	s_load_b128 s[20:23], s[0:1], 0x60
	s_add_co_i32 s16, s13, s14
	v_and_b32_e32 v18, 0x3ff, v0
	v_mov_b32_e32 v3, 0
	s_wait_kmcnt 0x0
	s_add_co_i32 s3, s4, -1
	s_delay_alu instid0(SALU_CYCLE_1) | instskip(NEXT) | instid1(SALU_CYCLE_1)
	s_ashr_i32 s12, s3, 31
	s_lshr_b32 s12, s12, 27
	s_delay_alu instid0(SALU_CYCLE_1) | instskip(NEXT) | instid1(SALU_CYCLE_1)
	s_add_co_i32 s3, s3, s12
	s_ashr_i32 s3, s3, 5
	s_delay_alu instid0(SALU_CYCLE_1) | instskip(SKIP_2) | instid1(SALU_CYCLE_3)
	s_add_co_i32 s24, s3, 1
	s_not_b32 s3, s3
	s_cvt_f32_u32 s12, s24
	v_rcp_iflag_f32_e32 v1, s12
	v_nop
	s_delay_alu instid0(TRANS32_DEP_1) | instskip(SKIP_2) | instid1(SALU_CYCLE_3)
	v_readfirstlane_b32 s12, v1
	v_lshlrev_b32_e32 v1, 1, v16
	s_mul_f32 s12, s12, 0x4f7ffffe
	s_cvt_u32_f32 s12, s12
	s_delay_alu instid0(SALU_CYCLE_3) | instskip(NEXT) | instid1(SALU_CYCLE_1)
	s_mul_i32 s3, s3, s12
	s_mul_hi_u32 s3, s12, s3
	s_delay_alu instid0(SALU_CYCLE_1)
	s_add_co_i32 s3, s12, s3
	s_cmp_eq_u32 s2, 0
	s_load_b128 s[12:15], s[0:1], 0x20
	s_cselect_b32 s2, ttmp9, s16
	s_load_b128 s[16:19], s[0:1], 0x40
	s_mul_hi_u32 s3, s2, s3
	s_delay_alu instid0(SALU_CYCLE_1) | instskip(SKIP_2) | instid1(SALU_CYCLE_1)
	s_mul_i32 s25, s3, s24
	s_add_co_i32 s26, s3, 1
	s_sub_co_i32 s25, s2, s25
	s_sub_co_i32 s27, s25, s24
	s_cmp_ge_u32 s25, s24
	s_cselect_b32 s3, s26, s3
	s_cselect_b32 s25, s27, s25
	s_add_co_i32 s26, s3, 1
	s_cmp_ge_u32 s25, s24
	s_cselect_b32 s3, s26, s3
	s_lshl_b64 s[20:21], s[20:21], 3
	v_lshl_add_u32 v12, s3, 6, v1
	s_mul_i32 s24, s3, s24
	s_wait_kmcnt 0x0
	s_lshl_b64 s[12:13], s[12:13], 3
	s_sub_co_i32 s2, s2, s24
	s_lshl_b64 s[16:17], s[16:17], 3
	v_lshl_add_u32 v0, s2, 5, v18
	v_dual_ashrrev_i32 v13, 31, v12 :: v_dual_bitop2_b32 v14, 1, v12 bitop3:0x54
	v_or_b32_e32 v2, v12, v18
	v_cmp_gt_u32_e64 s2, 2, v18
	s_delay_alu instid0(VALU_DEP_3) | instskip(NEXT) | instid1(VALU_DEP_4)
	v_dual_ashrrev_i32 v1, 31, v0 :: v_dual_ashrrev_i32 v15, 31, v14
	v_mul_u64_e32 v[8:9], s[22:23], v[12:13]
	s_delay_alu instid0(VALU_DEP_4) | instskip(SKIP_1) | instid1(VALU_DEP_4)
	v_mul_u64_e32 v[4:5], s[18:19], v[2:3]
	v_lshlrev_b32_e32 v13, 3, v18
	v_mul_u64_e32 v[6:7], s[14:15], v[0:1]
	v_mul_u64_e32 v[10:11], s[22:23], v[14:15]
	s_clause 0x2
	s_load_b64 s[14:15], s[0:1], 0x58
	s_load_b64 s[18:19], s[0:1], 0x18
	;; [unrolled: 1-line block ×3, first 2 shown]
	s_wait_xcnt 0x0
	v_cmp_eq_u32_e64 s0, 0, v16
	v_lshlrev_b32_e32 v16, 4, v16
	v_cmp_gt_i32_e64 s1, s4, v0
	v_add_nc_u32_e32 v17, 0x200, v13
	v_cmp_gt_u32_e64 s3, s5, v2
	v_cmp_gt_i32_e64 s4, s5, v12
	v_add_nc_u32_e32 v18, v16, v13
	v_cmp_gt_i32_e64 s5, s5, v14
	s_branch .LBB53_4
.LBB53_2:                               ;   in Loop: Header=BB53_4 Depth=1
	s_wait_xcnt 0x0
	s_or_b32 exec_lo, exec_lo, s26
.LBB53_3:                               ;   in Loop: Header=BB53_4 Depth=1
	s_add_co_i32 s6, s6, 0x10000
	s_delay_alu instid0(SALU_CYCLE_1)
	s_cmp_lt_u32 s6, s30
	s_cbranch_scc0 .LBB53_18
.LBB53_4:                               ; =>This Inner Loop Header: Depth=1
	s_wait_xcnt 0x0
	s_mul_u64 s[24:25], s[10:11], s[6:7]
	s_delay_alu instid0(SALU_CYCLE_1) | instskip(NEXT) | instid1(SALU_CYCLE_1)
	s_lshl_b64 s[24:25], s[24:25], 3
	s_add_nc_u64 s[24:25], s[8:9], s[24:25]
	global_load_b64 v[12:13], v3, s[24:25]
	s_wait_loadcnt 0x0
	v_or_b32_e32 v2, v12, v13
	s_delay_alu instid0(VALU_DEP_1) | instskip(NEXT) | instid1(VALU_DEP_1)
	v_and_b32_e32 v2, 0x7fffffff, v2
	v_cmp_eq_u32_e32 vcc_lo, 0, v2
	s_cbranch_vccnz .LBB53_3
; %bb.5:                                ;   in Loop: Header=BB53_4 Depth=1
	s_lshl_b64 s[28:29], s[6:7], 3
	s_wait_kmcnt 0x0
	s_add_nc_u64 s[34:35], s[22:23], s[28:29]
	s_add_nc_u64 s[36:37], s[14:15], s[28:29]
	s_load_b64 s[26:27], s[34:35], 0x0
	s_load_b64 s[24:25], s[36:37], 0x0
	s_and_saveexec_b32 s31, s0
	s_cbranch_execz .LBB53_9
; %bb.6:                                ;   in Loop: Header=BB53_4 Depth=1
	v_dual_mov_b32 v14, 0 :: v_dual_mov_b32 v15, 0
	s_and_saveexec_b32 s33, s1
	s_cbranch_execz .LBB53_8
; %bb.7:                                ;   in Loop: Header=BB53_4 Depth=1
	s_add_nc_u64 s[28:29], s[18:19], s[28:29]
	s_load_b64 s[28:29], s[28:29], 0x0
	s_wait_kmcnt 0x0
	s_wait_xcnt 0x0
	s_add_nc_u64 s[28:29], s[28:29], s[12:13]
	s_delay_alu instid0(SALU_CYCLE_1)
	v_lshl_add_u64 v[14:15], v[6:7], 3, s[28:29]
	flat_load_b64 v[14:15], v[14:15]
.LBB53_8:                               ;   in Loop: Header=BB53_4 Depth=1
	s_wait_xcnt 0x0
	s_or_b32 exec_lo, exec_lo, s33
	s_wait_loadcnt_dscnt 0x0
	ds_store_b64 v17, v[14:15]
.LBB53_9:                               ;   in Loop: Header=BB53_4 Depth=1
	s_or_b32 exec_lo, exec_lo, s31
	s_and_saveexec_b32 s28, s2
	s_cbranch_execz .LBB53_13
; %bb.10:                               ;   in Loop: Header=BB53_4 Depth=1
	v_dual_mov_b32 v14, 0 :: v_dual_mov_b32 v15, 0
	s_and_saveexec_b32 s29, s3
	s_cbranch_execz .LBB53_12
; %bb.11:                               ;   in Loop: Header=BB53_4 Depth=1
	s_wait_kmcnt 0x0
	s_add_nc_u64 s[26:27], s[26:27], s[16:17]
	s_delay_alu instid0(SALU_CYCLE_1)
	v_lshl_add_u64 v[14:15], v[4:5], 3, s[26:27]
	flat_load_b64 v[14:15], v[14:15]
.LBB53_12:                              ;   in Loop: Header=BB53_4 Depth=1
	s_wait_xcnt 0x0
	s_or_b32 exec_lo, exec_lo, s29
	s_wait_loadcnt_dscnt 0x0
	ds_store_b64 v18, v[14:15]
.LBB53_13:                              ;   in Loop: Header=BB53_4 Depth=1
	s_or_b32 exec_lo, exec_lo, s28
	s_wait_dscnt 0x0
	s_barrier_signal -1
	s_barrier_wait -1
	s_wait_kmcnt 0x0
	s_and_saveexec_b32 s26, s1
	s_cbranch_execz .LBB53_2
; %bb.14:                               ;   in Loop: Header=BB53_4 Depth=1
	ds_load_b64 v[14:15], v17
	s_add_nc_u64 s[24:25], s[24:25], s[20:21]
	s_wait_dscnt 0x0
	v_dual_mul_f32 v19, v15, v13 :: v_dual_mul_f32 v2, v15, v12
	s_delay_alu instid0(VALU_DEP_1)
	v_dual_fma_f32 v12, v14, v12, -v19 :: v_dual_fmac_f32 v2, v14, v13
	v_lshl_add_u64 v[14:15], v[0:1], 3, s[24:25]
	s_and_saveexec_b32 s24, s4
	s_cbranch_execz .LBB53_16
; %bb.15:                               ;   in Loop: Header=BB53_4 Depth=1
	s_delay_alu instid0(VALU_DEP_1) | instskip(SKIP_4) | instid1(VALU_DEP_1)
	v_lshl_add_u64 v[20:21], v[8:9], 3, v[14:15]
	ds_load_b64 v[24:25], v16
	flat_load_b64 v[22:23], v[20:21]
	s_wait_dscnt 0x1
	v_pk_mul_f32 v[26:27], v[2:3], v[24:25] op_sel:[0,1] op_sel_hi:[0,0]
	v_pk_fma_f32 v[28:29], v[12:13], v[24:25], v[26:27] op_sel_hi:[0,1,1]
	v_pk_fma_f32 v[24:25], v[12:13], v[24:25], v[26:27] neg_lo:[0,0,1] neg_hi:[0,0,1]
	s_delay_alu instid0(VALU_DEP_2) | instskip(SKIP_1) | instid1(VALU_DEP_1)
	v_mov_b32_e32 v25, v29
	s_wait_loadcnt_dscnt 0x0
	v_pk_add_f32 v[22:23], v[22:23], v[24:25]
	flat_store_b64 v[20:21], v[22:23]
.LBB53_16:                              ;   in Loop: Header=BB53_4 Depth=1
	s_wait_xcnt 0x0
	s_or_b32 exec_lo, exec_lo, s24
	s_delay_alu instid0(SALU_CYCLE_1)
	s_and_b32 exec_lo, exec_lo, s5
	s_cbranch_execz .LBB53_2
; %bb.17:                               ;   in Loop: Header=BB53_4 Depth=1
	v_lshl_add_u64 v[14:15], v[10:11], 3, v[14:15]
	ds_load_b64 v[22:23], v16 offset:8
	flat_load_b64 v[20:21], v[14:15]
	s_wait_dscnt 0x1
	v_pk_mul_f32 v[24:25], v[2:3], v[22:23] op_sel:[0,1] op_sel_hi:[0,0]
	s_delay_alu instid0(VALU_DEP_1) | instskip(SKIP_1) | instid1(VALU_DEP_2)
	v_pk_fma_f32 v[26:27], v[12:13], v[22:23], v[24:25] op_sel_hi:[0,1,1]
	v_pk_fma_f32 v[12:13], v[12:13], v[22:23], v[24:25] neg_lo:[0,0,1] neg_hi:[0,0,1]
	v_mov_b32_e32 v13, v27
	s_wait_loadcnt_dscnt 0x0
	s_delay_alu instid0(VALU_DEP_1)
	v_pk_add_f32 v[12:13], v[20:21], v[12:13]
	flat_store_b64 v[14:15], v[12:13]
	s_branch .LBB53_2
.LBB53_18:
	s_endpgm
	.section	.rodata,"a",@progbits
	.p2align	6, 0x0
	.amdhsa_kernel _ZL18rocblas_ger_kernelILi32ELi32ELi2ELb0E19rocblas_complex_numIfEPKS1_PKS3_PKPS1_EviiT4_lT5_lllSA_lllT6_lmli
		.amdhsa_group_segment_fixed_size 768
		.amdhsa_private_segment_fixed_size 0
		.amdhsa_kernarg_size 124
		.amdhsa_user_sgpr_count 2
		.amdhsa_user_sgpr_dispatch_ptr 0
		.amdhsa_user_sgpr_queue_ptr 0
		.amdhsa_user_sgpr_kernarg_segment_ptr 1
		.amdhsa_user_sgpr_dispatch_id 0
		.amdhsa_user_sgpr_kernarg_preload_length 0
		.amdhsa_user_sgpr_kernarg_preload_offset 0
		.amdhsa_user_sgpr_private_segment_size 0
		.amdhsa_wavefront_size32 1
		.amdhsa_uses_dynamic_stack 0
		.amdhsa_enable_private_segment 0
		.amdhsa_system_sgpr_workgroup_id_x 1
		.amdhsa_system_sgpr_workgroup_id_y 0
		.amdhsa_system_sgpr_workgroup_id_z 1
		.amdhsa_system_sgpr_workgroup_info 0
		.amdhsa_system_vgpr_workitem_id 1
		.amdhsa_next_free_vgpr 30
		.amdhsa_next_free_sgpr 38
		.amdhsa_named_barrier_count 0
		.amdhsa_reserve_vcc 1
		.amdhsa_float_round_mode_32 0
		.amdhsa_float_round_mode_16_64 0
		.amdhsa_float_denorm_mode_32 3
		.amdhsa_float_denorm_mode_16_64 3
		.amdhsa_fp16_overflow 0
		.amdhsa_memory_ordered 1
		.amdhsa_forward_progress 1
		.amdhsa_inst_pref_size 9
		.amdhsa_round_robin_scheduling 0
		.amdhsa_exception_fp_ieee_invalid_op 0
		.amdhsa_exception_fp_denorm_src 0
		.amdhsa_exception_fp_ieee_div_zero 0
		.amdhsa_exception_fp_ieee_overflow 0
		.amdhsa_exception_fp_ieee_underflow 0
		.amdhsa_exception_fp_ieee_inexact 0
		.amdhsa_exception_int_div_zero 0
	.end_amdhsa_kernel
	.section	.text._ZL18rocblas_ger_kernelILi32ELi32ELi2ELb0E19rocblas_complex_numIfEPKS1_PKS3_PKPS1_EviiT4_lT5_lllSA_lllT6_lmli,"axG",@progbits,_ZL18rocblas_ger_kernelILi32ELi32ELi2ELb0E19rocblas_complex_numIfEPKS1_PKS3_PKPS1_EviiT4_lT5_lllSA_lllT6_lmli,comdat
.Lfunc_end53:
	.size	_ZL18rocblas_ger_kernelILi32ELi32ELi2ELb0E19rocblas_complex_numIfEPKS1_PKS3_PKPS1_EviiT4_lT5_lllSA_lllT6_lmli, .Lfunc_end53-_ZL18rocblas_ger_kernelILi32ELi32ELi2ELb0E19rocblas_complex_numIfEPKS1_PKS3_PKPS1_EviiT4_lT5_lllSA_lllT6_lmli
                                        ; -- End function
	.set _ZL18rocblas_ger_kernelILi32ELi32ELi2ELb0E19rocblas_complex_numIfEPKS1_PKS3_PKPS1_EviiT4_lT5_lllSA_lllT6_lmli.num_vgpr, 30
	.set _ZL18rocblas_ger_kernelILi32ELi32ELi2ELb0E19rocblas_complex_numIfEPKS1_PKS3_PKPS1_EviiT4_lT5_lllSA_lllT6_lmli.num_agpr, 0
	.set _ZL18rocblas_ger_kernelILi32ELi32ELi2ELb0E19rocblas_complex_numIfEPKS1_PKS3_PKPS1_EviiT4_lT5_lllSA_lllT6_lmli.numbered_sgpr, 38
	.set _ZL18rocblas_ger_kernelILi32ELi32ELi2ELb0E19rocblas_complex_numIfEPKS1_PKS3_PKPS1_EviiT4_lT5_lllSA_lllT6_lmli.num_named_barrier, 0
	.set _ZL18rocblas_ger_kernelILi32ELi32ELi2ELb0E19rocblas_complex_numIfEPKS1_PKS3_PKPS1_EviiT4_lT5_lllSA_lllT6_lmli.private_seg_size, 0
	.set _ZL18rocblas_ger_kernelILi32ELi32ELi2ELb0E19rocblas_complex_numIfEPKS1_PKS3_PKPS1_EviiT4_lT5_lllSA_lllT6_lmli.uses_vcc, 1
	.set _ZL18rocblas_ger_kernelILi32ELi32ELi2ELb0E19rocblas_complex_numIfEPKS1_PKS3_PKPS1_EviiT4_lT5_lllSA_lllT6_lmli.uses_flat_scratch, 0
	.set _ZL18rocblas_ger_kernelILi32ELi32ELi2ELb0E19rocblas_complex_numIfEPKS1_PKS3_PKPS1_EviiT4_lT5_lllSA_lllT6_lmli.has_dyn_sized_stack, 0
	.set _ZL18rocblas_ger_kernelILi32ELi32ELi2ELb0E19rocblas_complex_numIfEPKS1_PKS3_PKPS1_EviiT4_lT5_lllSA_lllT6_lmli.has_recursion, 0
	.set _ZL18rocblas_ger_kernelILi32ELi32ELi2ELb0E19rocblas_complex_numIfEPKS1_PKS3_PKPS1_EviiT4_lT5_lllSA_lllT6_lmli.has_indirect_call, 0
	.section	.AMDGPU.csdata,"",@progbits
; Kernel info:
; codeLenInByte = 1096
; TotalNumSgprs: 40
; NumVgprs: 30
; ScratchSize: 0
; MemoryBound: 0
; FloatMode: 240
; IeeeMode: 1
; LDSByteSize: 768 bytes/workgroup (compile time only)
; SGPRBlocks: 0
; VGPRBlocks: 1
; NumSGPRsForWavesPerEU: 40
; NumVGPRsForWavesPerEU: 30
; NamedBarCnt: 0
; Occupancy: 16
; WaveLimiterHint : 1
; COMPUTE_PGM_RSRC2:SCRATCH_EN: 0
; COMPUTE_PGM_RSRC2:USER_SGPR: 2
; COMPUTE_PGM_RSRC2:TRAP_HANDLER: 0
; COMPUTE_PGM_RSRC2:TGID_X_EN: 1
; COMPUTE_PGM_RSRC2:TGID_Y_EN: 0
; COMPUTE_PGM_RSRC2:TGID_Z_EN: 1
; COMPUTE_PGM_RSRC2:TIDIG_COMP_CNT: 1
	.section	.text._ZL18rocblas_ger_kernelILi32ELi32ELi2ELb0E19rocblas_complex_numIfES1_PKPKS1_PKPS1_EviiT4_lT5_lllSA_lllT6_lmli,"axG",@progbits,_ZL18rocblas_ger_kernelILi32ELi32ELi2ELb0E19rocblas_complex_numIfES1_PKPKS1_PKPS1_EviiT4_lT5_lllSA_lllT6_lmli,comdat
	.globl	_ZL18rocblas_ger_kernelILi32ELi32ELi2ELb0E19rocblas_complex_numIfES1_PKPKS1_PKPS1_EviiT4_lT5_lllSA_lllT6_lmli ; -- Begin function _ZL18rocblas_ger_kernelILi32ELi32ELi2ELb0E19rocblas_complex_numIfES1_PKPKS1_PKPS1_EviiT4_lT5_lllSA_lllT6_lmli
	.p2align	8
	.type	_ZL18rocblas_ger_kernelILi32ELi32ELi2ELb0E19rocblas_complex_numIfES1_PKPKS1_PKPS1_EviiT4_lT5_lllSA_lllT6_lmli,@function
_ZL18rocblas_ger_kernelILi32ELi32ELi2ELb0E19rocblas_complex_numIfES1_PKPKS1_PKPS1_EviiT4_lT5_lllSA_lllT6_lmli: ; @_ZL18rocblas_ger_kernelILi32ELi32ELi2ELb0E19rocblas_complex_numIfES1_PKPKS1_PKPS1_EviiT4_lT5_lllSA_lllT6_lmli
; %bb.0:
	s_load_b32 s26, s[0:1], 0x78
	s_bfe_u32 s2, ttmp6, 0x40014
	s_lshr_b32 s3, ttmp7, 16
	s_add_co_i32 s2, s2, 1
	s_bfe_u32 s5, ttmp6, 0x40008
	s_mul_i32 s4, s3, s2
	s_getreg_b32 s2, hwreg(HW_REG_IB_STS2, 6, 4)
	s_add_co_i32 s5, s5, s4
	s_cmp_eq_u32 s2, 0
	s_mov_b32 s21, 0
	s_cselect_b32 s20, s3, s5
	s_wait_kmcnt 0x0
	s_cmp_ge_u32 s20, s26
	s_cbranch_scc1 .LBB54_18
; %bb.1:
	s_clause 0x1
	s_load_b128 s[4:7], s[0:1], 0x0
	s_load_b128 s[16:19], s[0:1], 0x60
	s_bfe_u32 s10, ttmp6, 0x4000c
	s_and_b32 s9, ttmp6, 15
	s_add_co_i32 s10, s10, 1
	v_bfe_u32 v16, v0, 10, 10
	s_mul_i32 s10, ttmp9, s10
	v_and_b32_e32 v17, 0x3ff, v0
	s_add_co_i32 s12, s9, s10
	s_wait_kmcnt 0x0
	s_add_co_i32 s3, s4, -1
	s_delay_alu instid0(SALU_CYCLE_1) | instskip(NEXT) | instid1(SALU_CYCLE_1)
	s_ashr_i32 s8, s3, 31
	s_lshr_b32 s8, s8, 27
	s_delay_alu instid0(SALU_CYCLE_1) | instskip(NEXT) | instid1(SALU_CYCLE_1)
	s_add_co_i32 s3, s3, s8
	s_ashr_i32 s3, s3, 5
	s_delay_alu instid0(SALU_CYCLE_1) | instskip(SKIP_2) | instid1(SALU_CYCLE_3)
	s_add_co_i32 s22, s3, 1
	s_not_b32 s3, s3
	s_cvt_f32_u32 s8, s22
	v_rcp_iflag_f32_e32 v1, s8
	v_nop
	s_delay_alu instid0(TRANS32_DEP_1) | instskip(SKIP_2) | instid1(SALU_CYCLE_3)
	v_readfirstlane_b32 s8, v1
	v_lshlrev_b32_e32 v1, 1, v16
	s_mul_f32 s8, s8, 0x4f7ffffe
	s_cvt_u32_f32 s8, s8
	s_delay_alu instid0(SALU_CYCLE_3) | instskip(NEXT) | instid1(SALU_CYCLE_1)
	s_mul_i32 s3, s3, s8
	s_mul_hi_u32 s3, s8, s3
	s_delay_alu instid0(SALU_CYCLE_1)
	s_add_co_i32 s3, s8, s3
	s_cmp_eq_u32 s2, 0
	s_load_b128 s[8:11], s[0:1], 0x20
	s_cselect_b32 s2, ttmp9, s12
	s_load_b128 s[12:15], s[0:1], 0x40
	s_mul_hi_u32 s3, s2, s3
	s_delay_alu instid0(SALU_CYCLE_1) | instskip(SKIP_2) | instid1(SALU_CYCLE_1)
	s_mul_i32 s23, s3, s22
	s_add_co_i32 s24, s3, 1
	s_sub_co_i32 s23, s2, s23
	s_sub_co_i32 s25, s23, s22
	s_cmp_ge_u32 s23, s22
	s_cselect_b32 s3, s24, s3
	s_cselect_b32 s23, s25, s23
	s_add_co_i32 s24, s3, 1
	s_cmp_ge_u32 s23, s22
	s_cselect_b32 s3, s24, s3
	s_delay_alu instid0(SALU_CYCLE_1) | instskip(SKIP_3) | instid1(SALU_CYCLE_1)
	v_lshl_add_u32 v10, s3, 6, v1
	s_mul_i32 s22, s3, s22
	v_mov_b32_e32 v15, 0
	s_sub_co_i32 s2, s2, s22
	v_lshl_add_u32 v0, s2, 5, v17
	v_or_b32_e32 v12, 1, v10
	v_or_b32_e32 v14, v10, v17
	v_cmp_gt_u32_e64 s2, 2, v17
	s_delay_alu instid0(VALU_DEP_4) | instskip(NEXT) | instid1(VALU_DEP_4)
	v_dual_ashrrev_i32 v11, 31, v10 :: v_dual_ashrrev_i32 v1, 31, v0
	v_ashrrev_i32_e32 v13, 31, v12
	s_wait_kmcnt 0x0
	v_mul_u64_e32 v[2:3], s[14:15], v[14:15]
	v_cmp_gt_u32_e64 s3, s5, v14
	v_mul_u64_e32 v[6:7], s[18:19], v[10:11]
	v_mul_u64_e32 v[4:5], s[10:11], v[0:1]
	v_lshlrev_b32_e32 v11, 3, v17
	v_mul_u64_e32 v[8:9], s[18:19], v[12:13]
	s_clause 0x2
	s_load_b64 s[10:11], s[0:1], 0x58
	s_load_b64 s[14:15], s[0:1], 0x18
	;; [unrolled: 1-line block ×3, first 2 shown]
	v_lshlrev_b32_e32 v13, 4, v16
	s_wait_xcnt 0x0
	s_or_b32 s0, s6, s7
	v_cmp_gt_i32_e64 s1, s4, v0
	s_bitset0_b32 s0, 31
	v_cmp_gt_i32_e64 s4, s5, v10
	s_cmp_lg_u32 s0, 0
	v_cmp_eq_u32_e64 s0, 0, v16
	v_add_nc_u32_e32 v16, 0x200, v11
	v_add_nc_u32_e32 v17, v13, v11
	v_cmp_gt_i32_e64 s5, s5, v12
	s_cselect_b32 s27, -1, 0
	s_lshl_b64 s[8:9], s[8:9], 3
	s_lshl_b64 s[12:13], s[12:13], 3
	;; [unrolled: 1-line block ×3, first 2 shown]
	s_branch .LBB54_4
.LBB54_2:                               ;   in Loop: Header=BB54_4 Depth=1
	s_wait_xcnt 0x0
	s_or_b32 exec_lo, exec_lo, s24
.LBB54_3:                               ;   in Loop: Header=BB54_4 Depth=1
	s_add_co_i32 s20, s20, 0x10000
	s_delay_alu instid0(SALU_CYCLE_1)
	s_cmp_lt_u32 s20, s26
	s_cbranch_scc0 .LBB54_18
.LBB54_4:                               ; =>This Inner Loop Header: Depth=1
	s_and_not1_b32 vcc_lo, exec_lo, s27
	s_cbranch_vccnz .LBB54_3
; %bb.5:                                ;   in Loop: Header=BB54_4 Depth=1
	s_wait_kmcnt 0x0
	s_load_b64 s[24:25], s[18:19], s20 offset:0x0 scale_offset
	s_load_b64 s[22:23], s[10:11], s20 offset:0x0 scale_offset
	s_and_saveexec_b32 s28, s0
	s_cbranch_execz .LBB54_9
; %bb.6:                                ;   in Loop: Header=BB54_4 Depth=1
	v_dual_mov_b32 v10, 0 :: v_dual_mov_b32 v11, 0
	s_and_saveexec_b32 s29, s1
	s_cbranch_execz .LBB54_8
; %bb.7:                                ;   in Loop: Header=BB54_4 Depth=1
	s_lshl_b64 s[30:31], s[20:21], 3
	s_delay_alu instid0(SALU_CYCLE_1) | instskip(SKIP_4) | instid1(SALU_CYCLE_1)
	s_add_nc_u64 s[30:31], s[14:15], s[30:31]
	s_load_b64 s[30:31], s[30:31], 0x0
	s_wait_kmcnt 0x0
	s_wait_xcnt 0x0
	s_add_nc_u64 s[30:31], s[30:31], s[8:9]
	v_lshl_add_u64 v[10:11], v[4:5], 3, s[30:31]
	flat_load_b64 v[10:11], v[10:11]
.LBB54_8:                               ;   in Loop: Header=BB54_4 Depth=1
	s_wait_xcnt 0x0
	s_or_b32 exec_lo, exec_lo, s29
	s_wait_loadcnt_dscnt 0x0
	ds_store_b64 v16, v[10:11]
.LBB54_9:                               ;   in Loop: Header=BB54_4 Depth=1
	s_or_b32 exec_lo, exec_lo, s28
	s_and_saveexec_b32 s28, s2
	s_cbranch_execz .LBB54_13
; %bb.10:                               ;   in Loop: Header=BB54_4 Depth=1
	v_dual_mov_b32 v10, 0 :: v_dual_mov_b32 v11, 0
	s_and_saveexec_b32 s29, s3
	s_cbranch_execz .LBB54_12
; %bb.11:                               ;   in Loop: Header=BB54_4 Depth=1
	s_wait_kmcnt 0x0
	s_add_nc_u64 s[24:25], s[24:25], s[12:13]
	s_delay_alu instid0(SALU_CYCLE_1)
	v_lshl_add_u64 v[10:11], v[2:3], 3, s[24:25]
	flat_load_b64 v[10:11], v[10:11]
.LBB54_12:                              ;   in Loop: Header=BB54_4 Depth=1
	s_wait_xcnt 0x0
	s_or_b32 exec_lo, exec_lo, s29
	s_wait_loadcnt_dscnt 0x0
	ds_store_b64 v17, v[10:11]
.LBB54_13:                              ;   in Loop: Header=BB54_4 Depth=1
	s_or_b32 exec_lo, exec_lo, s28
	s_wait_dscnt 0x0
	s_barrier_signal -1
	s_barrier_wait -1
	s_wait_kmcnt 0x0
	s_and_saveexec_b32 s24, s1
	s_cbranch_execz .LBB54_2
; %bb.14:                               ;   in Loop: Header=BB54_4 Depth=1
	ds_load_b64 v[14:15], v16
	s_add_nc_u64 s[22:23], s[22:23], s[16:17]
	s_wait_dscnt 0x0
	v_dual_mul_f32 v11, s7, v15 :: v_dual_mul_f32 v10, s6, v15
	s_delay_alu instid0(VALU_DEP_1) | instskip(NEXT) | instid1(VALU_DEP_2)
	v_fma_f32 v12, v14, s6, -v11
	v_fmac_f32_e32 v10, s7, v14
	v_lshl_add_u64 v[14:15], v[0:1], 3, s[22:23]
	s_and_saveexec_b32 s22, s4
	s_cbranch_execz .LBB54_16
; %bb.15:                               ;   in Loop: Header=BB54_4 Depth=1
	s_delay_alu instid0(VALU_DEP_1) | instskip(SKIP_4) | instid1(VALU_DEP_1)
	v_lshl_add_u64 v[18:19], v[6:7], 3, v[14:15]
	ds_load_b64 v[22:23], v13
	flat_load_b64 v[20:21], v[18:19]
	s_wait_dscnt 0x1
	v_pk_mul_f32 v[24:25], v[10:11], v[22:23] op_sel:[0,1] op_sel_hi:[0,0]
	v_pk_fma_f32 v[26:27], v[12:13], v[22:23], v[24:25] op_sel_hi:[0,1,1]
	v_pk_fma_f32 v[22:23], v[12:13], v[22:23], v[24:25] neg_lo:[0,0,1] neg_hi:[0,0,1]
	s_delay_alu instid0(VALU_DEP_2) | instskip(SKIP_1) | instid1(VALU_DEP_1)
	v_mov_b32_e32 v23, v27
	s_wait_loadcnt_dscnt 0x0
	v_pk_add_f32 v[20:21], v[20:21], v[22:23]
	flat_store_b64 v[18:19], v[20:21]
.LBB54_16:                              ;   in Loop: Header=BB54_4 Depth=1
	s_wait_xcnt 0x0
	s_or_b32 exec_lo, exec_lo, s22
	s_delay_alu instid0(SALU_CYCLE_1)
	s_and_b32 exec_lo, exec_lo, s5
	s_cbranch_execz .LBB54_2
; %bb.17:                               ;   in Loop: Header=BB54_4 Depth=1
	v_lshl_add_u64 v[14:15], v[8:9], 3, v[14:15]
	ds_load_b64 v[20:21], v13 offset:8
	flat_load_b64 v[18:19], v[14:15]
	s_wait_dscnt 0x1
	v_pk_mul_f32 v[10:11], v[10:11], v[20:21] op_sel:[0,1] op_sel_hi:[0,0]
	s_delay_alu instid0(VALU_DEP_1) | instskip(SKIP_1) | instid1(VALU_DEP_2)
	v_pk_fma_f32 v[22:23], v[12:13], v[20:21], v[10:11] op_sel_hi:[0,1,1]
	v_pk_fma_f32 v[10:11], v[12:13], v[20:21], v[10:11] neg_lo:[0,0,1] neg_hi:[0,0,1]
	v_mov_b32_e32 v11, v23
	s_wait_loadcnt_dscnt 0x0
	s_delay_alu instid0(VALU_DEP_1)
	v_pk_add_f32 v[10:11], v[18:19], v[10:11]
	flat_store_b64 v[14:15], v[10:11]
	s_branch .LBB54_2
.LBB54_18:
	s_endpgm
	.section	.rodata,"a",@progbits
	.p2align	6, 0x0
	.amdhsa_kernel _ZL18rocblas_ger_kernelILi32ELi32ELi2ELb0E19rocblas_complex_numIfES1_PKPKS1_PKPS1_EviiT4_lT5_lllSA_lllT6_lmli
		.amdhsa_group_segment_fixed_size 768
		.amdhsa_private_segment_fixed_size 0
		.amdhsa_kernarg_size 124
		.amdhsa_user_sgpr_count 2
		.amdhsa_user_sgpr_dispatch_ptr 0
		.amdhsa_user_sgpr_queue_ptr 0
		.amdhsa_user_sgpr_kernarg_segment_ptr 1
		.amdhsa_user_sgpr_dispatch_id 0
		.amdhsa_user_sgpr_kernarg_preload_length 0
		.amdhsa_user_sgpr_kernarg_preload_offset 0
		.amdhsa_user_sgpr_private_segment_size 0
		.amdhsa_wavefront_size32 1
		.amdhsa_uses_dynamic_stack 0
		.amdhsa_enable_private_segment 0
		.amdhsa_system_sgpr_workgroup_id_x 1
		.amdhsa_system_sgpr_workgroup_id_y 0
		.amdhsa_system_sgpr_workgroup_id_z 1
		.amdhsa_system_sgpr_workgroup_info 0
		.amdhsa_system_vgpr_workitem_id 1
		.amdhsa_next_free_vgpr 28
		.amdhsa_next_free_sgpr 32
		.amdhsa_named_barrier_count 0
		.amdhsa_reserve_vcc 1
		.amdhsa_float_round_mode_32 0
		.amdhsa_float_round_mode_16_64 0
		.amdhsa_float_denorm_mode_32 3
		.amdhsa_float_denorm_mode_16_64 3
		.amdhsa_fp16_overflow 0
		.amdhsa_memory_ordered 1
		.amdhsa_forward_progress 1
		.amdhsa_inst_pref_size 9
		.amdhsa_round_robin_scheduling 0
		.amdhsa_exception_fp_ieee_invalid_op 0
		.amdhsa_exception_fp_denorm_src 0
		.amdhsa_exception_fp_ieee_div_zero 0
		.amdhsa_exception_fp_ieee_overflow 0
		.amdhsa_exception_fp_ieee_underflow 0
		.amdhsa_exception_fp_ieee_inexact 0
		.amdhsa_exception_int_div_zero 0
	.end_amdhsa_kernel
	.section	.text._ZL18rocblas_ger_kernelILi32ELi32ELi2ELb0E19rocblas_complex_numIfES1_PKPKS1_PKPS1_EviiT4_lT5_lllSA_lllT6_lmli,"axG",@progbits,_ZL18rocblas_ger_kernelILi32ELi32ELi2ELb0E19rocblas_complex_numIfES1_PKPKS1_PKPS1_EviiT4_lT5_lllSA_lllT6_lmli,comdat
.Lfunc_end54:
	.size	_ZL18rocblas_ger_kernelILi32ELi32ELi2ELb0E19rocblas_complex_numIfES1_PKPKS1_PKPS1_EviiT4_lT5_lllSA_lllT6_lmli, .Lfunc_end54-_ZL18rocblas_ger_kernelILi32ELi32ELi2ELb0E19rocblas_complex_numIfES1_PKPKS1_PKPS1_EviiT4_lT5_lllSA_lllT6_lmli
                                        ; -- End function
	.set _ZL18rocblas_ger_kernelILi32ELi32ELi2ELb0E19rocblas_complex_numIfES1_PKPKS1_PKPS1_EviiT4_lT5_lllSA_lllT6_lmli.num_vgpr, 28
	.set _ZL18rocblas_ger_kernelILi32ELi32ELi2ELb0E19rocblas_complex_numIfES1_PKPKS1_PKPS1_EviiT4_lT5_lllSA_lllT6_lmli.num_agpr, 0
	.set _ZL18rocblas_ger_kernelILi32ELi32ELi2ELb0E19rocblas_complex_numIfES1_PKPKS1_PKPS1_EviiT4_lT5_lllSA_lllT6_lmli.numbered_sgpr, 32
	.set _ZL18rocblas_ger_kernelILi32ELi32ELi2ELb0E19rocblas_complex_numIfES1_PKPKS1_PKPS1_EviiT4_lT5_lllSA_lllT6_lmli.num_named_barrier, 0
	.set _ZL18rocblas_ger_kernelILi32ELi32ELi2ELb0E19rocblas_complex_numIfES1_PKPKS1_PKPS1_EviiT4_lT5_lllSA_lllT6_lmli.private_seg_size, 0
	.set _ZL18rocblas_ger_kernelILi32ELi32ELi2ELb0E19rocblas_complex_numIfES1_PKPKS1_PKPS1_EviiT4_lT5_lllSA_lllT6_lmli.uses_vcc, 1
	.set _ZL18rocblas_ger_kernelILi32ELi32ELi2ELb0E19rocblas_complex_numIfES1_PKPKS1_PKPS1_EviiT4_lT5_lllSA_lllT6_lmli.uses_flat_scratch, 0
	.set _ZL18rocblas_ger_kernelILi32ELi32ELi2ELb0E19rocblas_complex_numIfES1_PKPKS1_PKPS1_EviiT4_lT5_lllSA_lllT6_lmli.has_dyn_sized_stack, 0
	.set _ZL18rocblas_ger_kernelILi32ELi32ELi2ELb0E19rocblas_complex_numIfES1_PKPKS1_PKPS1_EviiT4_lT5_lllSA_lllT6_lmli.has_recursion, 0
	.set _ZL18rocblas_ger_kernelILi32ELi32ELi2ELb0E19rocblas_complex_numIfES1_PKPKS1_PKPS1_EviiT4_lT5_lllSA_lllT6_lmli.has_indirect_call, 0
	.section	.AMDGPU.csdata,"",@progbits
; Kernel info:
; codeLenInByte = 1040
; TotalNumSgprs: 34
; NumVgprs: 28
; ScratchSize: 0
; MemoryBound: 0
; FloatMode: 240
; IeeeMode: 1
; LDSByteSize: 768 bytes/workgroup (compile time only)
; SGPRBlocks: 0
; VGPRBlocks: 1
; NumSGPRsForWavesPerEU: 34
; NumVGPRsForWavesPerEU: 28
; NamedBarCnt: 0
; Occupancy: 16
; WaveLimiterHint : 1
; COMPUTE_PGM_RSRC2:SCRATCH_EN: 0
; COMPUTE_PGM_RSRC2:USER_SGPR: 2
; COMPUTE_PGM_RSRC2:TRAP_HANDLER: 0
; COMPUTE_PGM_RSRC2:TGID_X_EN: 1
; COMPUTE_PGM_RSRC2:TGID_Y_EN: 0
; COMPUTE_PGM_RSRC2:TGID_Z_EN: 1
; COMPUTE_PGM_RSRC2:TIDIG_COMP_CNT: 1
	.section	.text._ZL34rocblas_ger_double_buffered_kernelILb0ELi64ELi16ELi2E19rocblas_complex_numIdE24rocblas_internal_val_ptrIS1_EPKPKS1_PKPS1_EvbiiT4_lT5_lllSC_lllT6_lmli,"axG",@progbits,_ZL34rocblas_ger_double_buffered_kernelILb0ELi64ELi16ELi2E19rocblas_complex_numIdE24rocblas_internal_val_ptrIS1_EPKPKS1_PKPS1_EvbiiT4_lT5_lllSC_lllT6_lmli,comdat
	.globl	_ZL34rocblas_ger_double_buffered_kernelILb0ELi64ELi16ELi2E19rocblas_complex_numIdE24rocblas_internal_val_ptrIS1_EPKPKS1_PKPS1_EvbiiT4_lT5_lllSC_lllT6_lmli ; -- Begin function _ZL34rocblas_ger_double_buffered_kernelILb0ELi64ELi16ELi2E19rocblas_complex_numIdE24rocblas_internal_val_ptrIS1_EPKPKS1_PKPS1_EvbiiT4_lT5_lllSC_lllT6_lmli
	.p2align	8
	.type	_ZL34rocblas_ger_double_buffered_kernelILb0ELi64ELi16ELi2E19rocblas_complex_numIdE24rocblas_internal_val_ptrIS1_EPKPKS1_PKPS1_EvbiiT4_lT5_lllSC_lllT6_lmli,@function
_ZL34rocblas_ger_double_buffered_kernelILb0ELi64ELi16ELi2E19rocblas_complex_numIdE24rocblas_internal_val_ptrIS1_EPKPKS1_PKPS1_EvbiiT4_lT5_lllSC_lllT6_lmli: ; @_ZL34rocblas_ger_double_buffered_kernelILb0ELi64ELi16ELi2E19rocblas_complex_numIdE24rocblas_internal_val_ptrIS1_EPKPKS1_PKPS1_EvbiiT4_lT5_lllSC_lllT6_lmli
; %bb.0:
	s_load_b32 s33, s[0:1], 0x88
	s_bfe_u32 s2, ttmp6, 0x40014
	s_lshr_b32 s3, ttmp7, 16
	s_add_co_i32 s2, s2, 1
	s_bfe_u32 s4, ttmp6, 0x40008
	s_mul_i32 s2, s3, s2
	s_getreg_b32 s26, hwreg(HW_REG_IB_STS2, 6, 4)
	s_add_co_i32 s4, s4, s2
	s_cmp_eq_u32 s26, 0
	s_cselect_b32 s2, s3, s4
	s_mov_b32 s3, 0
	s_wait_kmcnt 0x0
	s_cmp_ge_u32 s2, s33
	s_cbranch_scc1 .LBB55_8
; %bb.1:
	v_dual_lshrrev_b32 v1, 4, v0 :: v_dual_mov_b32 v5, 0
	s_load_b128 s[12:15], s[0:1], 0x70
	v_and_b32_e32 v2, 0x3ff, v0
	s_clause 0x1
	s_load_b128 s[20:23], s[0:1], 0x50
	s_load_b256 s[4:11], s[0:1], 0x20
	v_and_b32_e32 v1, 0xffc0, v1
	s_clause 0x2
	s_load_b32 s27, s[0:1], 0x0
	s_load_b128 s[16:19], s[0:1], 0x10
	s_load_b64 s[24:25], s[0:1], 0x68
	v_dual_add_nc_u32 v1, v1, v2 :: v_dual_bitop2_b32 v0, 31, v0 bitop3:0x40
	s_delay_alu instid0(VALU_DEP_1) | instskip(NEXT) | instid1(VALU_DEP_2)
	v_dual_mov_b32 v3, v5 :: v_dual_bitop2_b32 v2, 32, v0 bitop3:0x54
	v_dual_mov_b32 v1, v5 :: v_dual_lshrrev_b32 v10, 4, v1
	s_delay_alu instid0(VALU_DEP_1) | instskip(SKIP_1) | instid1(VALU_DEP_3)
	v_and_b32_e32 v4, 0x1ffe, v10
	s_wait_kmcnt 0x0
	v_mul_u64_e32 v[12:13], s[10:11], v[2:3]
	s_delay_alu instid0(VALU_DEP_2)
	v_mul_u64_e32 v[6:7], s[14:15], v[4:5]
	v_mul_u64_e32 v[8:9], s[22:23], v[4:5]
	v_or_b32_e32 v4, 1, v10
	v_mul_u64_e32 v[10:11], s[10:11], v[0:1]
	s_bitcmp1_b32 s27, 0
	s_cselect_b32 s27, -1, 0
	s_delay_alu instid0(VALU_DEP_2)
	v_mul_u64_e32 v[14:15], s[22:23], v[4:5]
	s_bfe_u32 s28, ttmp6, 0x4000c
	s_bfe_u32 s30, ttmp6, 0x40010
	s_add_co_i32 s28, s28, 1
	s_and_b32 s31, ttmp7, 0xffff
	s_add_co_i32 s30, s30, 1
	s_xor_b32 s29, s27, -1
	s_and_b32 s27, ttmp6, 15
	s_mul_i32 s28, ttmp9, s28
	s_mul_i32 s30, s31, s30
	s_bfe_u32 s34, ttmp6, 0x40004
	s_add_co_i32 s28, s27, s28
	s_add_co_i32 s34, s34, s30
	s_cmp_eq_u32 s26, 0
	s_load_b64 s[26:27], s[0:1], 0x48
	s_wait_xcnt 0x0
	s_cselect_b32 s0, ttmp9, s28
	v_cndmask_b32_e64 v1, 0, 1, s29
	s_cselect_b32 s1, s31, s34
	s_lshl_b32 s28, s0, 6
	s_lshl_b32 s0, s1, 6
	s_mov_b32 s1, s3
	s_ashr_i32 s29, s28, 31
	s_mul_u64 s[30:31], s[14:15], s[0:1]
	s_mul_u64 s[36:37], s[22:23], s[0:1]
	v_cmp_ne_u32_e64 s0, 1, v1
	v_lshlrev_b32_e32 v4, 4, v0
	s_mul_u64 s[34:35], s[10:11], s[28:29]
	s_lshl_b64 s[10:11], s[12:13], 4
	s_lshl_b64 s[12:13], s[20:21], 4
	;; [unrolled: 1-line block ×7, first 2 shown]
	s_branch .LBB55_3
.LBB55_2:                               ;   in Loop: Header=BB55_3 Depth=1
	s_add_co_i32 s2, s2, 0x10000
	s_delay_alu instid0(SALU_CYCLE_1)
	s_cmp_lt_u32 s2, s33
	s_cbranch_scc0 .LBB55_8
.LBB55_3:                               ; =>This Inner Loop Header: Depth=1
	s_and_b32 vcc_lo, exec_lo, s0
	s_cbranch_vccnz .LBB55_5
; %bb.4:                                ;   in Loop: Header=BB55_3 Depth=1
	s_wait_xcnt 0x0
	s_mul_u64 s[34:35], s[4:5], s[2:3]
	s_delay_alu instid0(SALU_CYCLE_1) | instskip(NEXT) | instid1(SALU_CYCLE_1)
	s_lshl_b64 s[34:35], s[34:35], 4
	s_add_nc_u64 s[34:35], s[16:17], s[34:35]
	global_load_b128 v[0:3], v5, s[34:35]
	s_branch .LBB55_6
.LBB55_5:                               ;   in Loop: Header=BB55_3 Depth=1
	s_wait_xcnt 0x3
	v_mov_b64_e32 v[2:3], s[18:19]
	v_mov_b64_e32 v[0:1], s[16:17]
.LBB55_6:                               ;   in Loop: Header=BB55_3 Depth=1
	s_wait_loadcnt 0x0
	s_delay_alu instid0(VALU_DEP_1) | instskip(NEXT) | instid1(VALU_DEP_3)
	v_cmp_neq_f64_e32 vcc_lo, 0, v[0:1]
	v_cmp_neq_f64_e64 s1, 0, v[2:3]
	s_or_b32 s1, vcc_lo, s1
	s_delay_alu instid0(SALU_CYCLE_1)
	s_and_not1_b32 vcc_lo, exec_lo, s1
	s_cbranch_vccnz .LBB55_2
; %bb.7:                                ;   in Loop: Header=BB55_3 Depth=1
	s_wait_xcnt 0x0
	s_lshl_b64 s[34:35], s[2:3], 3
	s_delay_alu instid0(SALU_CYCLE_1) | instskip(SKIP_4) | instid1(SALU_CYCLE_1)
	s_add_nc_u64 s[36:37], s[6:7], s[34:35]
	s_load_b64 s[36:37], s[36:37], 0x0
	s_wait_kmcnt 0x0
	s_wait_xcnt 0x0
	s_add_nc_u64 s[36:37], s[36:37], s[8:9]
	s_add_nc_u64 s[36:37], s[36:37], s[28:29]
	s_delay_alu instid0(SALU_CYCLE_1)
	v_lshl_add_u64 v[16:17], v[10:11], 4, s[36:37]
	v_lshl_add_u64 v[20:21], v[12:13], 4, s[36:37]
	s_add_nc_u64 s[36:37], s[26:27], s[34:35]
	s_add_nc_u64 s[34:35], s[24:25], s[34:35]
	s_load_b64 s[36:37], s[36:37], 0x0
	s_clause 0x1
	flat_load_b128 v[16:19], v[16:17]
	flat_load_b128 v[20:23], v[20:21]
	s_wait_kmcnt 0x0
	s_add_nc_u64 s[36:37], s[36:37], s[12:13]
	s_delay_alu instid0(SALU_CYCLE_1) | instskip(NEXT) | instid1(SALU_CYCLE_1)
	s_add_nc_u64 s[36:37], s[36:37], s[30:31]
	v_lshl_add_u64 v[32:33], v[8:9], 4, s[36:37]
	v_lshl_add_u64 v[34:35], v[14:15], 4, s[36:37]
	s_clause 0x1
	flat_load_b128 v[24:27], v[32:33]
	flat_load_b128 v[28:31], v[34:35]
	s_load_b64 s[34:35], s[34:35], 0x0
	s_wait_kmcnt 0x0
	s_wait_xcnt 0x0
	s_add_nc_u64 s[34:35], s[34:35], s[10:11]
	s_delay_alu instid0(SALU_CYCLE_1) | instskip(NEXT) | instid1(SALU_CYCLE_1)
	s_add_nc_u64 s[34:35], s[34:35], s[20:21]
	s_add_nc_u64 s[34:35], s[34:35], s[22:23]
	s_delay_alu instid0(SALU_CYCLE_1) | instskip(NEXT) | instid1(VALU_DEP_1)
	v_lshl_add_u64 v[32:33], v[6:7], 4, s[34:35]
	v_add_nc_u64_e32 v[48:49], v[32:33], v[4:5]
	s_delay_alu instid0(VALU_DEP_1)
	v_lshl_add_u64 v[50:51], s[14:15], 4, v[48:49]
	s_clause 0x3
	flat_load_b128 v[32:35], v[48:49]
	flat_load_b128 v[36:39], v[50:51]
	flat_load_b128 v[40:43], v[48:49] offset:512
	flat_load_b128 v[44:47], v[50:51] offset:512
	s_wait_loadcnt_dscnt 0x707
	v_mul_f64_e32 v[52:53], v[0:1], v[18:19]
	v_mul_f64_e32 v[18:19], v[2:3], v[18:19]
	s_wait_loadcnt_dscnt 0x606
	v_mul_f64_e32 v[54:55], v[0:1], v[22:23]
	v_mul_f64_e32 v[22:23], v[2:3], v[22:23]
	s_delay_alu instid0(VALU_DEP_4) | instskip(NEXT) | instid1(VALU_DEP_4)
	v_fmac_f64_e32 v[52:53], v[2:3], v[16:17]
	v_fma_f64 v[16:17], v[0:1], v[16:17], -v[18:19]
	s_delay_alu instid0(VALU_DEP_4) | instskip(NEXT) | instid1(VALU_DEP_4)
	v_fmac_f64_e32 v[54:55], v[2:3], v[20:21]
	v_fma_f64 v[0:1], v[0:1], v[20:21], -v[22:23]
	s_wait_loadcnt_dscnt 0x505
	s_delay_alu instid0(VALU_DEP_4)
	v_mul_f64_e32 v[2:3], v[52:53], v[26:27]
	s_wait_loadcnt_dscnt 0x404
	v_mul_f64_e32 v[18:19], v[52:53], v[30:31]
	v_mul_f64_e32 v[20:21], v[16:17], v[26:27]
	;; [unrolled: 1-line block ×5, first 2 shown]
	v_fma_f64 v[2:3], v[16:17], v[24:25], -v[2:3]
	v_fma_f64 v[16:17], v[16:17], v[28:29], -v[18:19]
	v_mul_f64_e32 v[18:19], v[54:55], v[30:31]
	v_mul_f64_e32 v[30:31], v[0:1], v[30:31]
	v_fmac_f64_e32 v[20:21], v[52:53], v[24:25]
	v_fmac_f64_e32 v[22:23], v[52:53], v[28:29]
	v_fma_f64 v[52:53], v[0:1], v[24:25], -v[56:57]
	v_fmac_f64_e32 v[26:27], v[54:55], v[24:25]
	s_wait_loadcnt_dscnt 0x202
	v_add_f64_e32 v[16:17], v[36:37], v[16:17]
	v_fma_f64 v[24:25], v[0:1], v[28:29], -v[18:19]
	v_fmac_f64_e32 v[30:31], v[54:55], v[28:29]
	v_add_f64_e32 v[0:1], v[32:33], v[2:3]
	v_add_f64_e32 v[2:3], v[20:21], v[34:35]
	;; [unrolled: 1-line block ×3, first 2 shown]
	s_wait_loadcnt_dscnt 0x101
	v_add_f64_e32 v[20:21], v[40:41], v[52:53]
	v_add_f64_e32 v[22:23], v[26:27], v[42:43]
	s_wait_loadcnt_dscnt 0x0
	v_add_f64_e32 v[24:25], v[44:45], v[24:25]
	v_add_f64_e32 v[26:27], v[30:31], v[46:47]
	s_clause 0x3
	flat_store_b128 v[48:49], v[0:3]
	flat_store_b128 v[50:51], v[16:19]
	flat_store_b128 v[48:49], v[20:23] offset:512
	flat_store_b128 v[50:51], v[24:27] offset:512
	s_branch .LBB55_2
.LBB55_8:
	s_endpgm
	.section	.rodata,"a",@progbits
	.p2align	6, 0x0
	.amdhsa_kernel _ZL34rocblas_ger_double_buffered_kernelILb0ELi64ELi16ELi2E19rocblas_complex_numIdE24rocblas_internal_val_ptrIS1_EPKPKS1_PKPS1_EvbiiT4_lT5_lllSC_lllT6_lmli
		.amdhsa_group_segment_fixed_size 0
		.amdhsa_private_segment_fixed_size 0
		.amdhsa_kernarg_size 140
		.amdhsa_user_sgpr_count 2
		.amdhsa_user_sgpr_dispatch_ptr 0
		.amdhsa_user_sgpr_queue_ptr 0
		.amdhsa_user_sgpr_kernarg_segment_ptr 1
		.amdhsa_user_sgpr_dispatch_id 0
		.amdhsa_user_sgpr_kernarg_preload_length 0
		.amdhsa_user_sgpr_kernarg_preload_offset 0
		.amdhsa_user_sgpr_private_segment_size 0
		.amdhsa_wavefront_size32 1
		.amdhsa_uses_dynamic_stack 0
		.amdhsa_enable_private_segment 0
		.amdhsa_system_sgpr_workgroup_id_x 1
		.amdhsa_system_sgpr_workgroup_id_y 1
		.amdhsa_system_sgpr_workgroup_id_z 1
		.amdhsa_system_sgpr_workgroup_info 0
		.amdhsa_system_vgpr_workitem_id 1
		.amdhsa_next_free_vgpr 58
		.amdhsa_next_free_sgpr 38
		.amdhsa_named_barrier_count 0
		.amdhsa_reserve_vcc 1
		.amdhsa_float_round_mode_32 0
		.amdhsa_float_round_mode_16_64 0
		.amdhsa_float_denorm_mode_32 3
		.amdhsa_float_denorm_mode_16_64 3
		.amdhsa_fp16_overflow 0
		.amdhsa_memory_ordered 1
		.amdhsa_forward_progress 1
		.amdhsa_inst_pref_size 9
		.amdhsa_round_robin_scheduling 0
		.amdhsa_exception_fp_ieee_invalid_op 0
		.amdhsa_exception_fp_denorm_src 0
		.amdhsa_exception_fp_ieee_div_zero 0
		.amdhsa_exception_fp_ieee_overflow 0
		.amdhsa_exception_fp_ieee_underflow 0
		.amdhsa_exception_fp_ieee_inexact 0
		.amdhsa_exception_int_div_zero 0
	.end_amdhsa_kernel
	.section	.text._ZL34rocblas_ger_double_buffered_kernelILb0ELi64ELi16ELi2E19rocblas_complex_numIdE24rocblas_internal_val_ptrIS1_EPKPKS1_PKPS1_EvbiiT4_lT5_lllSC_lllT6_lmli,"axG",@progbits,_ZL34rocblas_ger_double_buffered_kernelILb0ELi64ELi16ELi2E19rocblas_complex_numIdE24rocblas_internal_val_ptrIS1_EPKPKS1_PKPS1_EvbiiT4_lT5_lllSC_lllT6_lmli,comdat
.Lfunc_end55:
	.size	_ZL34rocblas_ger_double_buffered_kernelILb0ELi64ELi16ELi2E19rocblas_complex_numIdE24rocblas_internal_val_ptrIS1_EPKPKS1_PKPS1_EvbiiT4_lT5_lllSC_lllT6_lmli, .Lfunc_end55-_ZL34rocblas_ger_double_buffered_kernelILb0ELi64ELi16ELi2E19rocblas_complex_numIdE24rocblas_internal_val_ptrIS1_EPKPKS1_PKPS1_EvbiiT4_lT5_lllSC_lllT6_lmli
                                        ; -- End function
	.set _ZL34rocblas_ger_double_buffered_kernelILb0ELi64ELi16ELi2E19rocblas_complex_numIdE24rocblas_internal_val_ptrIS1_EPKPKS1_PKPS1_EvbiiT4_lT5_lllSC_lllT6_lmli.num_vgpr, 58
	.set _ZL34rocblas_ger_double_buffered_kernelILb0ELi64ELi16ELi2E19rocblas_complex_numIdE24rocblas_internal_val_ptrIS1_EPKPKS1_PKPS1_EvbiiT4_lT5_lllSC_lllT6_lmli.num_agpr, 0
	.set _ZL34rocblas_ger_double_buffered_kernelILb0ELi64ELi16ELi2E19rocblas_complex_numIdE24rocblas_internal_val_ptrIS1_EPKPKS1_PKPS1_EvbiiT4_lT5_lllSC_lllT6_lmli.numbered_sgpr, 38
	.set _ZL34rocblas_ger_double_buffered_kernelILb0ELi64ELi16ELi2E19rocblas_complex_numIdE24rocblas_internal_val_ptrIS1_EPKPKS1_PKPS1_EvbiiT4_lT5_lllSC_lllT6_lmli.num_named_barrier, 0
	.set _ZL34rocblas_ger_double_buffered_kernelILb0ELi64ELi16ELi2E19rocblas_complex_numIdE24rocblas_internal_val_ptrIS1_EPKPKS1_PKPS1_EvbiiT4_lT5_lllSC_lllT6_lmli.private_seg_size, 0
	.set _ZL34rocblas_ger_double_buffered_kernelILb0ELi64ELi16ELi2E19rocblas_complex_numIdE24rocblas_internal_val_ptrIS1_EPKPKS1_PKPS1_EvbiiT4_lT5_lllSC_lllT6_lmli.uses_vcc, 1
	.set _ZL34rocblas_ger_double_buffered_kernelILb0ELi64ELi16ELi2E19rocblas_complex_numIdE24rocblas_internal_val_ptrIS1_EPKPKS1_PKPS1_EvbiiT4_lT5_lllSC_lllT6_lmli.uses_flat_scratch, 1
	.set _ZL34rocblas_ger_double_buffered_kernelILb0ELi64ELi16ELi2E19rocblas_complex_numIdE24rocblas_internal_val_ptrIS1_EPKPKS1_PKPS1_EvbiiT4_lT5_lllSC_lllT6_lmli.has_dyn_sized_stack, 0
	.set _ZL34rocblas_ger_double_buffered_kernelILb0ELi64ELi16ELi2E19rocblas_complex_numIdE24rocblas_internal_val_ptrIS1_EPKPKS1_PKPS1_EvbiiT4_lT5_lllSC_lllT6_lmli.has_recursion, 0
	.set _ZL34rocblas_ger_double_buffered_kernelILb0ELi64ELi16ELi2E19rocblas_complex_numIdE24rocblas_internal_val_ptrIS1_EPKPKS1_PKPS1_EvbiiT4_lT5_lllSC_lllT6_lmli.has_indirect_call, 0
	.section	.AMDGPU.csdata,"",@progbits
; Kernel info:
; codeLenInByte = 1052
; TotalNumSgprs: 40
; NumVgprs: 58
; ScratchSize: 0
; MemoryBound: 1
; FloatMode: 240
; IeeeMode: 1
; LDSByteSize: 0 bytes/workgroup (compile time only)
; SGPRBlocks: 0
; VGPRBlocks: 3
; NumSGPRsForWavesPerEU: 40
; NumVGPRsForWavesPerEU: 58
; NamedBarCnt: 0
; Occupancy: 16
; WaveLimiterHint : 1
; COMPUTE_PGM_RSRC2:SCRATCH_EN: 0
; COMPUTE_PGM_RSRC2:USER_SGPR: 2
; COMPUTE_PGM_RSRC2:TRAP_HANDLER: 0
; COMPUTE_PGM_RSRC2:TGID_X_EN: 1
; COMPUTE_PGM_RSRC2:TGID_Y_EN: 1
; COMPUTE_PGM_RSRC2:TGID_Z_EN: 1
; COMPUTE_PGM_RSRC2:TIDIG_COMP_CNT: 1
	.section	.text._ZL26rocblas_sger_gfx942_kernelILi256E19rocblas_complex_numIdEPKS1_PKS3_PKPS1_EviiT1_lT2_lllSA_lllT3_lll,"axG",@progbits,_ZL26rocblas_sger_gfx942_kernelILi256E19rocblas_complex_numIdEPKS1_PKS3_PKPS1_EviiT1_lT2_lllSA_lllT3_lll,comdat
	.globl	_ZL26rocblas_sger_gfx942_kernelILi256E19rocblas_complex_numIdEPKS1_PKS3_PKPS1_EviiT1_lT2_lllSA_lllT3_lll ; -- Begin function _ZL26rocblas_sger_gfx942_kernelILi256E19rocblas_complex_numIdEPKS1_PKS3_PKPS1_EviiT1_lT2_lllSA_lllT3_lll
	.p2align	8
	.type	_ZL26rocblas_sger_gfx942_kernelILi256E19rocblas_complex_numIdEPKS1_PKS3_PKPS1_EviiT1_lT2_lllSA_lllT3_lll,@function
_ZL26rocblas_sger_gfx942_kernelILi256E19rocblas_complex_numIdEPKS1_PKS3_PKPS1_EviiT1_lT2_lllSA_lllT3_lll: ; @_ZL26rocblas_sger_gfx942_kernelILi256E19rocblas_complex_numIdEPKS1_PKS3_PKPS1_EviiT1_lT2_lllSA_lllT3_lll
; %bb.0:
	s_endpgm
	.section	.rodata,"a",@progbits
	.p2align	6, 0x0
	.amdhsa_kernel _ZL26rocblas_sger_gfx942_kernelILi256E19rocblas_complex_numIdEPKS1_PKS3_PKPS1_EviiT1_lT2_lllSA_lllT3_lll
		.amdhsa_group_segment_fixed_size 0
		.amdhsa_private_segment_fixed_size 0
		.amdhsa_kernarg_size 120
		.amdhsa_user_sgpr_count 2
		.amdhsa_user_sgpr_dispatch_ptr 0
		.amdhsa_user_sgpr_queue_ptr 0
		.amdhsa_user_sgpr_kernarg_segment_ptr 1
		.amdhsa_user_sgpr_dispatch_id 0
		.amdhsa_user_sgpr_kernarg_preload_length 0
		.amdhsa_user_sgpr_kernarg_preload_offset 0
		.amdhsa_user_sgpr_private_segment_size 0
		.amdhsa_wavefront_size32 1
		.amdhsa_uses_dynamic_stack 0
		.amdhsa_enable_private_segment 0
		.amdhsa_system_sgpr_workgroup_id_x 1
		.amdhsa_system_sgpr_workgroup_id_y 0
		.amdhsa_system_sgpr_workgroup_id_z 0
		.amdhsa_system_sgpr_workgroup_info 0
		.amdhsa_system_vgpr_workitem_id 0
		.amdhsa_next_free_vgpr 1
		.amdhsa_next_free_sgpr 1
		.amdhsa_named_barrier_count 0
		.amdhsa_reserve_vcc 0
		.amdhsa_float_round_mode_32 0
		.amdhsa_float_round_mode_16_64 0
		.amdhsa_float_denorm_mode_32 3
		.amdhsa_float_denorm_mode_16_64 3
		.amdhsa_fp16_overflow 0
		.amdhsa_memory_ordered 1
		.amdhsa_forward_progress 1
		.amdhsa_inst_pref_size 1
		.amdhsa_round_robin_scheduling 0
		.amdhsa_exception_fp_ieee_invalid_op 0
		.amdhsa_exception_fp_denorm_src 0
		.amdhsa_exception_fp_ieee_div_zero 0
		.amdhsa_exception_fp_ieee_overflow 0
		.amdhsa_exception_fp_ieee_underflow 0
		.amdhsa_exception_fp_ieee_inexact 0
		.amdhsa_exception_int_div_zero 0
	.end_amdhsa_kernel
	.section	.text._ZL26rocblas_sger_gfx942_kernelILi256E19rocblas_complex_numIdEPKS1_PKS3_PKPS1_EviiT1_lT2_lllSA_lllT3_lll,"axG",@progbits,_ZL26rocblas_sger_gfx942_kernelILi256E19rocblas_complex_numIdEPKS1_PKS3_PKPS1_EviiT1_lT2_lllSA_lllT3_lll,comdat
.Lfunc_end56:
	.size	_ZL26rocblas_sger_gfx942_kernelILi256E19rocblas_complex_numIdEPKS1_PKS3_PKPS1_EviiT1_lT2_lllSA_lllT3_lll, .Lfunc_end56-_ZL26rocblas_sger_gfx942_kernelILi256E19rocblas_complex_numIdEPKS1_PKS3_PKPS1_EviiT1_lT2_lllSA_lllT3_lll
                                        ; -- End function
	.set _ZL26rocblas_sger_gfx942_kernelILi256E19rocblas_complex_numIdEPKS1_PKS3_PKPS1_EviiT1_lT2_lllSA_lllT3_lll.num_vgpr, 0
	.set _ZL26rocblas_sger_gfx942_kernelILi256E19rocblas_complex_numIdEPKS1_PKS3_PKPS1_EviiT1_lT2_lllSA_lllT3_lll.num_agpr, 0
	.set _ZL26rocblas_sger_gfx942_kernelILi256E19rocblas_complex_numIdEPKS1_PKS3_PKPS1_EviiT1_lT2_lllSA_lllT3_lll.numbered_sgpr, 0
	.set _ZL26rocblas_sger_gfx942_kernelILi256E19rocblas_complex_numIdEPKS1_PKS3_PKPS1_EviiT1_lT2_lllSA_lllT3_lll.num_named_barrier, 0
	.set _ZL26rocblas_sger_gfx942_kernelILi256E19rocblas_complex_numIdEPKS1_PKS3_PKPS1_EviiT1_lT2_lllSA_lllT3_lll.private_seg_size, 0
	.set _ZL26rocblas_sger_gfx942_kernelILi256E19rocblas_complex_numIdEPKS1_PKS3_PKPS1_EviiT1_lT2_lllSA_lllT3_lll.uses_vcc, 0
	.set _ZL26rocblas_sger_gfx942_kernelILi256E19rocblas_complex_numIdEPKS1_PKS3_PKPS1_EviiT1_lT2_lllSA_lllT3_lll.uses_flat_scratch, 0
	.set _ZL26rocblas_sger_gfx942_kernelILi256E19rocblas_complex_numIdEPKS1_PKS3_PKPS1_EviiT1_lT2_lllSA_lllT3_lll.has_dyn_sized_stack, 0
	.set _ZL26rocblas_sger_gfx942_kernelILi256E19rocblas_complex_numIdEPKS1_PKS3_PKPS1_EviiT1_lT2_lllSA_lllT3_lll.has_recursion, 0
	.set _ZL26rocblas_sger_gfx942_kernelILi256E19rocblas_complex_numIdEPKS1_PKS3_PKPS1_EviiT1_lT2_lllSA_lllT3_lll.has_indirect_call, 0
	.section	.AMDGPU.csdata,"",@progbits
; Kernel info:
; codeLenInByte = 4
; TotalNumSgprs: 0
; NumVgprs: 0
; ScratchSize: 0
; MemoryBound: 0
; FloatMode: 240
; IeeeMode: 1
; LDSByteSize: 0 bytes/workgroup (compile time only)
; SGPRBlocks: 0
; VGPRBlocks: 0
; NumSGPRsForWavesPerEU: 1
; NumVGPRsForWavesPerEU: 1
; NamedBarCnt: 0
; Occupancy: 16
; WaveLimiterHint : 0
; COMPUTE_PGM_RSRC2:SCRATCH_EN: 0
; COMPUTE_PGM_RSRC2:USER_SGPR: 2
; COMPUTE_PGM_RSRC2:TRAP_HANDLER: 0
; COMPUTE_PGM_RSRC2:TGID_X_EN: 1
; COMPUTE_PGM_RSRC2:TGID_Y_EN: 0
; COMPUTE_PGM_RSRC2:TGID_Z_EN: 0
; COMPUTE_PGM_RSRC2:TIDIG_COMP_CNT: 0
	.section	.text._ZL26rocblas_sger_gfx942_kernelILi256E19rocblas_complex_numIdES1_PKPKS1_PKPS1_EviiT1_lT2_lllSA_lllT3_lll,"axG",@progbits,_ZL26rocblas_sger_gfx942_kernelILi256E19rocblas_complex_numIdES1_PKPKS1_PKPS1_EviiT1_lT2_lllSA_lllT3_lll,comdat
	.globl	_ZL26rocblas_sger_gfx942_kernelILi256E19rocblas_complex_numIdES1_PKPKS1_PKPS1_EviiT1_lT2_lllSA_lllT3_lll ; -- Begin function _ZL26rocblas_sger_gfx942_kernelILi256E19rocblas_complex_numIdES1_PKPKS1_PKPS1_EviiT1_lT2_lllSA_lllT3_lll
	.p2align	8
	.type	_ZL26rocblas_sger_gfx942_kernelILi256E19rocblas_complex_numIdES1_PKPKS1_PKPS1_EviiT1_lT2_lllSA_lllT3_lll,@function
_ZL26rocblas_sger_gfx942_kernelILi256E19rocblas_complex_numIdES1_PKPKS1_PKPS1_EviiT1_lT2_lllSA_lllT3_lll: ; @_ZL26rocblas_sger_gfx942_kernelILi256E19rocblas_complex_numIdES1_PKPKS1_PKPS1_EviiT1_lT2_lllSA_lllT3_lll
; %bb.0:
	s_endpgm
	.section	.rodata,"a",@progbits
	.p2align	6, 0x0
	.amdhsa_kernel _ZL26rocblas_sger_gfx942_kernelILi256E19rocblas_complex_numIdES1_PKPKS1_PKPS1_EviiT1_lT2_lllSA_lllT3_lll
		.amdhsa_group_segment_fixed_size 0
		.amdhsa_private_segment_fixed_size 0
		.amdhsa_kernarg_size 128
		.amdhsa_user_sgpr_count 2
		.amdhsa_user_sgpr_dispatch_ptr 0
		.amdhsa_user_sgpr_queue_ptr 0
		.amdhsa_user_sgpr_kernarg_segment_ptr 1
		.amdhsa_user_sgpr_dispatch_id 0
		.amdhsa_user_sgpr_kernarg_preload_length 0
		.amdhsa_user_sgpr_kernarg_preload_offset 0
		.amdhsa_user_sgpr_private_segment_size 0
		.amdhsa_wavefront_size32 1
		.amdhsa_uses_dynamic_stack 0
		.amdhsa_enable_private_segment 0
		.amdhsa_system_sgpr_workgroup_id_x 1
		.amdhsa_system_sgpr_workgroup_id_y 0
		.amdhsa_system_sgpr_workgroup_id_z 0
		.amdhsa_system_sgpr_workgroup_info 0
		.amdhsa_system_vgpr_workitem_id 0
		.amdhsa_next_free_vgpr 1
		.amdhsa_next_free_sgpr 1
		.amdhsa_named_barrier_count 0
		.amdhsa_reserve_vcc 0
		.amdhsa_float_round_mode_32 0
		.amdhsa_float_round_mode_16_64 0
		.amdhsa_float_denorm_mode_32 3
		.amdhsa_float_denorm_mode_16_64 3
		.amdhsa_fp16_overflow 0
		.amdhsa_memory_ordered 1
		.amdhsa_forward_progress 1
		.amdhsa_inst_pref_size 1
		.amdhsa_round_robin_scheduling 0
		.amdhsa_exception_fp_ieee_invalid_op 0
		.amdhsa_exception_fp_denorm_src 0
		.amdhsa_exception_fp_ieee_div_zero 0
		.amdhsa_exception_fp_ieee_overflow 0
		.amdhsa_exception_fp_ieee_underflow 0
		.amdhsa_exception_fp_ieee_inexact 0
		.amdhsa_exception_int_div_zero 0
	.end_amdhsa_kernel
	.section	.text._ZL26rocblas_sger_gfx942_kernelILi256E19rocblas_complex_numIdES1_PKPKS1_PKPS1_EviiT1_lT2_lllSA_lllT3_lll,"axG",@progbits,_ZL26rocblas_sger_gfx942_kernelILi256E19rocblas_complex_numIdES1_PKPKS1_PKPS1_EviiT1_lT2_lllSA_lllT3_lll,comdat
.Lfunc_end57:
	.size	_ZL26rocblas_sger_gfx942_kernelILi256E19rocblas_complex_numIdES1_PKPKS1_PKPS1_EviiT1_lT2_lllSA_lllT3_lll, .Lfunc_end57-_ZL26rocblas_sger_gfx942_kernelILi256E19rocblas_complex_numIdES1_PKPKS1_PKPS1_EviiT1_lT2_lllSA_lllT3_lll
                                        ; -- End function
	.set _ZL26rocblas_sger_gfx942_kernelILi256E19rocblas_complex_numIdES1_PKPKS1_PKPS1_EviiT1_lT2_lllSA_lllT3_lll.num_vgpr, 0
	.set _ZL26rocblas_sger_gfx942_kernelILi256E19rocblas_complex_numIdES1_PKPKS1_PKPS1_EviiT1_lT2_lllSA_lllT3_lll.num_agpr, 0
	.set _ZL26rocblas_sger_gfx942_kernelILi256E19rocblas_complex_numIdES1_PKPKS1_PKPS1_EviiT1_lT2_lllSA_lllT3_lll.numbered_sgpr, 0
	.set _ZL26rocblas_sger_gfx942_kernelILi256E19rocblas_complex_numIdES1_PKPKS1_PKPS1_EviiT1_lT2_lllSA_lllT3_lll.num_named_barrier, 0
	.set _ZL26rocblas_sger_gfx942_kernelILi256E19rocblas_complex_numIdES1_PKPKS1_PKPS1_EviiT1_lT2_lllSA_lllT3_lll.private_seg_size, 0
	.set _ZL26rocblas_sger_gfx942_kernelILi256E19rocblas_complex_numIdES1_PKPKS1_PKPS1_EviiT1_lT2_lllSA_lllT3_lll.uses_vcc, 0
	.set _ZL26rocblas_sger_gfx942_kernelILi256E19rocblas_complex_numIdES1_PKPKS1_PKPS1_EviiT1_lT2_lllSA_lllT3_lll.uses_flat_scratch, 0
	.set _ZL26rocblas_sger_gfx942_kernelILi256E19rocblas_complex_numIdES1_PKPKS1_PKPS1_EviiT1_lT2_lllSA_lllT3_lll.has_dyn_sized_stack, 0
	.set _ZL26rocblas_sger_gfx942_kernelILi256E19rocblas_complex_numIdES1_PKPKS1_PKPS1_EviiT1_lT2_lllSA_lllT3_lll.has_recursion, 0
	.set _ZL26rocblas_sger_gfx942_kernelILi256E19rocblas_complex_numIdES1_PKPKS1_PKPS1_EviiT1_lT2_lllSA_lllT3_lll.has_indirect_call, 0
	.section	.AMDGPU.csdata,"",@progbits
; Kernel info:
; codeLenInByte = 4
; TotalNumSgprs: 0
; NumVgprs: 0
; ScratchSize: 0
; MemoryBound: 0
; FloatMode: 240
; IeeeMode: 1
; LDSByteSize: 0 bytes/workgroup (compile time only)
; SGPRBlocks: 0
; VGPRBlocks: 0
; NumSGPRsForWavesPerEU: 1
; NumVGPRsForWavesPerEU: 1
; NamedBarCnt: 0
; Occupancy: 16
; WaveLimiterHint : 0
; COMPUTE_PGM_RSRC2:SCRATCH_EN: 0
; COMPUTE_PGM_RSRC2:USER_SGPR: 2
; COMPUTE_PGM_RSRC2:TRAP_HANDLER: 0
; COMPUTE_PGM_RSRC2:TGID_X_EN: 1
; COMPUTE_PGM_RSRC2:TGID_Y_EN: 0
; COMPUTE_PGM_RSRC2:TGID_Z_EN: 0
; COMPUTE_PGM_RSRC2:TIDIG_COMP_CNT: 0
	.section	.text._ZL19rocblas_sger_kernelILi1024E19rocblas_complex_numIdEPKS1_PKS3_PKPS1_EviiT1_lT2_lllSA_lllT3_lmli,"axG",@progbits,_ZL19rocblas_sger_kernelILi1024E19rocblas_complex_numIdEPKS1_PKS3_PKPS1_EviiT1_lT2_lllSA_lllT3_lmli,comdat
	.globl	_ZL19rocblas_sger_kernelILi1024E19rocblas_complex_numIdEPKS1_PKS3_PKPS1_EviiT1_lT2_lllSA_lllT3_lmli ; -- Begin function _ZL19rocblas_sger_kernelILi1024E19rocblas_complex_numIdEPKS1_PKS3_PKPS1_EviiT1_lT2_lllSA_lllT3_lmli
	.p2align	8
	.type	_ZL19rocblas_sger_kernelILi1024E19rocblas_complex_numIdEPKS1_PKS3_PKPS1_EviiT1_lT2_lllSA_lllT3_lmli,@function
_ZL19rocblas_sger_kernelILi1024E19rocblas_complex_numIdEPKS1_PKS3_PKPS1_EviiT1_lT2_lllSA_lllT3_lmli: ; @_ZL19rocblas_sger_kernelILi1024E19rocblas_complex_numIdEPKS1_PKS3_PKPS1_EviiT1_lT2_lllSA_lllT3_lmli
; %bb.0:
	s_load_b32 s3, s[0:1], 0x78
	s_bfe_u32 s2, ttmp6, 0x40014
	s_lshr_b32 s4, ttmp7, 16
	s_add_co_i32 s2, s2, 1
	s_bfe_u32 s6, ttmp6, 0x40008
	s_mul_i32 s5, s4, s2
	s_getreg_b32 s2, hwreg(HW_REG_IB_STS2, 6, 4)
	s_add_co_i32 s6, s6, s5
	s_cmp_eq_u32 s2, 0
	s_mov_b32 s13, 0
	s_cselect_b32 s12, s4, s6
	s_wait_kmcnt 0x0
	s_cmp_ge_u32 s12, s3
	s_cbranch_scc1 .LBB58_8
; %bb.1:
	s_clause 0x1
	s_load_b32 s22, s[0:1], 0x0
	s_load_b128 s[8:11], s[0:1], 0x20
	s_bfe_u32 s4, ttmp6, 0x4000c
	s_and_b32 s16, ttmp6, 15
	s_add_co_i32 s4, s4, 1
	s_clause 0x1
	s_load_b128 s[24:27], s[0:1], 0x60
	s_load_b64 s[14:15], s[0:1], 0x58
	s_mul_i32 s17, ttmp9, s4
	s_load_b128 s[4:7], s[0:1], 0x8
	s_add_co_i32 s16, s16, s17
	s_cmp_eq_u32 s2, 0
	s_clause 0x1
	s_load_b128 s[28:31], s[0:1], 0x40
	s_load_b64 s[18:19], s[0:1], 0x38
	s_cselect_b32 s20, ttmp9, s16
	s_load_b64 s[16:17], s[0:1], 0x18
	s_ashr_i32 s21, s20, 31
	s_wait_kmcnt 0x0
	v_cmp_gt_i32_e64 s2, s22, v0
	v_mov_b32_e32 v7, 0
	s_mul_u64 s[26:27], s[26:27], s[20:21]
	s_delay_alu instid0(VALU_DEP_1) | instskip(SKIP_2) | instid1(SALU_CYCLE_1)
	v_mov_b32_e32 v1, v7
	s_lshl_b64 s[0:1], s[26:27], 4
	s_lshl_b64 s[24:25], s[24:25], 4
	s_add_nc_u64 s[0:1], s[0:1], s[24:25]
	s_delay_alu instid0(VALU_DEP_1) | instskip(SKIP_1) | instid1(VALU_DEP_1)
	v_mul_u64_e32 v[2:3], s[10:11], v[0:1]
	v_cndmask_b32_e64 v1, 0, v0, s2
	v_lshlrev_b32_e32 v6, 4, v1
	s_delay_alu instid0(VALU_DEP_1) | instskip(SKIP_3) | instid1(VALU_DEP_1)
	v_add_nc_u64_e32 v[8:9], s[0:1], v[6:7]
	s_lshl_b64 s[0:1], s[8:9], 4
	s_lshl_b64 s[8:9], s[10:11], 14
	;; [unrolled: 1-line block ×3, first 2 shown]
	v_or_b32_e32 v8, 8, v8
	v_lshl_add_u64 v[10:11], v[2:3], 4, s[0:1]
	s_mul_u64 s[0:1], s[30:31], s[20:21]
	s_delay_alu instid0(SALU_CYCLE_1) | instskip(NEXT) | instid1(VALU_DEP_1)
	s_lshl_b64 s[20:21], s[0:1], 4
	v_or_b32_e32 v10, 8, v10
	s_branch .LBB58_4
.LBB58_2:                               ;   in Loop: Header=BB58_4 Depth=1
	s_or_b32 exec_lo, exec_lo, s0
.LBB58_3:                               ;   in Loop: Header=BB58_4 Depth=1
	s_add_co_i32 s12, s12, 0x10000
	s_delay_alu instid0(SALU_CYCLE_1)
	s_cmp_lt_u32 s12, s3
	s_cbranch_scc0 .LBB58_8
.LBB58_4:                               ; =>This Loop Header: Depth=1
                                        ;     Child Loop BB58_7 Depth 2
	s_mul_u64 s[0:1], s[6:7], s[12:13]
	s_delay_alu instid0(SALU_CYCLE_1) | instskip(NEXT) | instid1(SALU_CYCLE_1)
	s_lshl_b64 s[0:1], s[0:1], 4
	s_add_nc_u64 s[0:1], s[4:5], s[0:1]
	global_load_b128 v[2:5], v7, s[0:1]
	s_wait_loadcnt 0x0
	v_cmp_neq_f64_e32 vcc_lo, 0, v[2:3]
	s_wait_xcnt 0x0
	v_cmp_neq_f64_e64 s0, 0, v[4:5]
	s_or_b32 s0, vcc_lo, s0
	s_delay_alu instid0(SALU_CYCLE_1)
	s_and_not1_b32 vcc_lo, exec_lo, s0
	s_cbranch_vccnz .LBB58_3
; %bb.5:                                ;   in Loop: Header=BB58_4 Depth=1
	s_and_saveexec_b32 s0, s2
	s_cbranch_execz .LBB58_2
; %bb.6:                                ;   in Loop: Header=BB58_4 Depth=1
	s_lshl_b64 s[24:25], s[12:13], 3
	s_mov_b32 s1, 0
	s_add_nc_u64 s[26:27], s[18:19], s[24:25]
	v_mov_b32_e32 v1, v0
	s_load_b64 s[26:27], s[26:27], 0x0
	s_wait_kmcnt 0x0
	s_wait_xcnt 0x0
	s_add_nc_u64 s[26:27], s[26:27], s[10:11]
	s_delay_alu instid0(SALU_CYCLE_1)
	s_add_nc_u64 s[26:27], s[26:27], s[20:21]
	flat_load_b128 v[14:17], v7, s[26:27]
	s_wait_xcnt 0x0
	s_add_nc_u64 s[26:27], s[14:15], s[24:25]
	s_add_nc_u64 s[24:25], s[16:17], s[24:25]
	s_load_b64 s[28:29], s[26:27], 0x0
	s_load_b64 s[30:31], s[24:25], 0x0
	s_wait_loadcnt_dscnt 0x0
	v_mul_f64_e32 v[18:19], v[4:5], v[16:17]
	v_mul_f64_e32 v[12:13], v[2:3], v[16:17]
	s_delay_alu instid0(VALU_DEP_2) | instskip(NEXT) | instid1(VALU_DEP_2)
	v_fma_f64 v[2:3], v[2:3], v[14:15], -v[18:19]
	v_fmac_f64_e32 v[12:13], v[4:5], v[14:15]
	s_wait_kmcnt 0x0
	v_add_nc_u64_e32 v[4:5], s[28:29], v[8:9]
	v_add_nc_u64_e32 v[14:15], s[30:31], v[10:11]
.LBB58_7:                               ;   Parent Loop BB58_4 Depth=1
                                        ; =>  This Inner Loop Header: Depth=2
	flat_load_b128 v[16:19], v[14:15] offset:-8
	flat_load_b128 v[20:23], v[4:5] offset:-8
	v_add_nc_u32_e32 v1, 0x400, v1
	s_wait_xcnt 0x1
	v_add_nc_u64_e32 v[14:15], s[8:9], v[14:15]
	s_delay_alu instid0(VALU_DEP_2) | instskip(SKIP_4) | instid1(VALU_DEP_2)
	v_cmp_le_i32_e32 vcc_lo, s22, v1
	s_or_b32 s1, vcc_lo, s1
	s_wait_loadcnt_dscnt 0x101
	v_mul_f64_e32 v[24:25], v[12:13], v[18:19]
	v_mul_f64_e32 v[18:19], v[2:3], v[18:19]
	v_fma_f64 v[24:25], v[2:3], v[16:17], -v[24:25]
	s_delay_alu instid0(VALU_DEP_2) | instskip(SKIP_1) | instid1(VALU_DEP_2)
	v_fmac_f64_e32 v[18:19], v[12:13], v[16:17]
	s_wait_loadcnt_dscnt 0x0
	v_add_f64_e32 v[16:17], v[20:21], v[24:25]
	s_delay_alu instid0(VALU_DEP_2)
	v_add_f64_e32 v[18:19], v[18:19], v[22:23]
	flat_store_b128 v[4:5], v[16:19] offset:-8
	s_wait_xcnt 0x0
	v_add_nc_u64_e32 v[4:5], 0x4000, v[4:5]
	s_and_not1_b32 exec_lo, exec_lo, s1
	s_cbranch_execnz .LBB58_7
	s_branch .LBB58_2
.LBB58_8:
	s_endpgm
	.section	.rodata,"a",@progbits
	.p2align	6, 0x0
	.amdhsa_kernel _ZL19rocblas_sger_kernelILi1024E19rocblas_complex_numIdEPKS1_PKS3_PKPS1_EviiT1_lT2_lllSA_lllT3_lmli
		.amdhsa_group_segment_fixed_size 0
		.amdhsa_private_segment_fixed_size 0
		.amdhsa_kernarg_size 124
		.amdhsa_user_sgpr_count 2
		.amdhsa_user_sgpr_dispatch_ptr 0
		.amdhsa_user_sgpr_queue_ptr 0
		.amdhsa_user_sgpr_kernarg_segment_ptr 1
		.amdhsa_user_sgpr_dispatch_id 0
		.amdhsa_user_sgpr_kernarg_preload_length 0
		.amdhsa_user_sgpr_kernarg_preload_offset 0
		.amdhsa_user_sgpr_private_segment_size 0
		.amdhsa_wavefront_size32 1
		.amdhsa_uses_dynamic_stack 0
		.amdhsa_enable_private_segment 0
		.amdhsa_system_sgpr_workgroup_id_x 1
		.amdhsa_system_sgpr_workgroup_id_y 0
		.amdhsa_system_sgpr_workgroup_id_z 1
		.amdhsa_system_sgpr_workgroup_info 0
		.amdhsa_system_vgpr_workitem_id 0
		.amdhsa_next_free_vgpr 26
		.amdhsa_next_free_sgpr 32
		.amdhsa_named_barrier_count 0
		.amdhsa_reserve_vcc 1
		.amdhsa_float_round_mode_32 0
		.amdhsa_float_round_mode_16_64 0
		.amdhsa_float_denorm_mode_32 3
		.amdhsa_float_denorm_mode_16_64 3
		.amdhsa_fp16_overflow 0
		.amdhsa_memory_ordered 1
		.amdhsa_forward_progress 1
		.amdhsa_inst_pref_size 6
		.amdhsa_round_robin_scheduling 0
		.amdhsa_exception_fp_ieee_invalid_op 0
		.amdhsa_exception_fp_denorm_src 0
		.amdhsa_exception_fp_ieee_div_zero 0
		.amdhsa_exception_fp_ieee_overflow 0
		.amdhsa_exception_fp_ieee_underflow 0
		.amdhsa_exception_fp_ieee_inexact 0
		.amdhsa_exception_int_div_zero 0
	.end_amdhsa_kernel
	.section	.text._ZL19rocblas_sger_kernelILi1024E19rocblas_complex_numIdEPKS1_PKS3_PKPS1_EviiT1_lT2_lllSA_lllT3_lmli,"axG",@progbits,_ZL19rocblas_sger_kernelILi1024E19rocblas_complex_numIdEPKS1_PKS3_PKPS1_EviiT1_lT2_lllSA_lllT3_lmli,comdat
.Lfunc_end58:
	.size	_ZL19rocblas_sger_kernelILi1024E19rocblas_complex_numIdEPKS1_PKS3_PKPS1_EviiT1_lT2_lllSA_lllT3_lmli, .Lfunc_end58-_ZL19rocblas_sger_kernelILi1024E19rocblas_complex_numIdEPKS1_PKS3_PKPS1_EviiT1_lT2_lllSA_lllT3_lmli
                                        ; -- End function
	.set _ZL19rocblas_sger_kernelILi1024E19rocblas_complex_numIdEPKS1_PKS3_PKPS1_EviiT1_lT2_lllSA_lllT3_lmli.num_vgpr, 26
	.set _ZL19rocblas_sger_kernelILi1024E19rocblas_complex_numIdEPKS1_PKS3_PKPS1_EviiT1_lT2_lllSA_lllT3_lmli.num_agpr, 0
	.set _ZL19rocblas_sger_kernelILi1024E19rocblas_complex_numIdEPKS1_PKS3_PKPS1_EviiT1_lT2_lllSA_lllT3_lmli.numbered_sgpr, 32
	.set _ZL19rocblas_sger_kernelILi1024E19rocblas_complex_numIdEPKS1_PKS3_PKPS1_EviiT1_lT2_lllSA_lllT3_lmli.num_named_barrier, 0
	.set _ZL19rocblas_sger_kernelILi1024E19rocblas_complex_numIdEPKS1_PKS3_PKPS1_EviiT1_lT2_lllSA_lllT3_lmli.private_seg_size, 0
	.set _ZL19rocblas_sger_kernelILi1024E19rocblas_complex_numIdEPKS1_PKS3_PKPS1_EviiT1_lT2_lllSA_lllT3_lmli.uses_vcc, 1
	.set _ZL19rocblas_sger_kernelILi1024E19rocblas_complex_numIdEPKS1_PKS3_PKPS1_EviiT1_lT2_lllSA_lllT3_lmli.uses_flat_scratch, 0
	.set _ZL19rocblas_sger_kernelILi1024E19rocblas_complex_numIdEPKS1_PKS3_PKPS1_EviiT1_lT2_lllSA_lllT3_lmli.has_dyn_sized_stack, 0
	.set _ZL19rocblas_sger_kernelILi1024E19rocblas_complex_numIdEPKS1_PKS3_PKPS1_EviiT1_lT2_lllSA_lllT3_lmli.has_recursion, 0
	.set _ZL19rocblas_sger_kernelILi1024E19rocblas_complex_numIdEPKS1_PKS3_PKPS1_EviiT1_lT2_lllSA_lllT3_lmli.has_indirect_call, 0
	.section	.AMDGPU.csdata,"",@progbits
; Kernel info:
; codeLenInByte = 648
; TotalNumSgprs: 34
; NumVgprs: 26
; ScratchSize: 0
; MemoryBound: 0
; FloatMode: 240
; IeeeMode: 1
; LDSByteSize: 0 bytes/workgroup (compile time only)
; SGPRBlocks: 0
; VGPRBlocks: 1
; NumSGPRsForWavesPerEU: 34
; NumVGPRsForWavesPerEU: 26
; NamedBarCnt: 0
; Occupancy: 16
; WaveLimiterHint : 1
; COMPUTE_PGM_RSRC2:SCRATCH_EN: 0
; COMPUTE_PGM_RSRC2:USER_SGPR: 2
; COMPUTE_PGM_RSRC2:TRAP_HANDLER: 0
; COMPUTE_PGM_RSRC2:TGID_X_EN: 1
; COMPUTE_PGM_RSRC2:TGID_Y_EN: 0
; COMPUTE_PGM_RSRC2:TGID_Z_EN: 1
; COMPUTE_PGM_RSRC2:TIDIG_COMP_CNT: 0
	.section	.text._ZL19rocblas_sger_kernelILi1024E19rocblas_complex_numIdES1_PKPKS1_PKPS1_EviiT1_lT2_lllSA_lllT3_lmli,"axG",@progbits,_ZL19rocblas_sger_kernelILi1024E19rocblas_complex_numIdES1_PKPKS1_PKPS1_EviiT1_lT2_lllSA_lllT3_lmli,comdat
	.globl	_ZL19rocblas_sger_kernelILi1024E19rocblas_complex_numIdES1_PKPKS1_PKPS1_EviiT1_lT2_lllSA_lllT3_lmli ; -- Begin function _ZL19rocblas_sger_kernelILi1024E19rocblas_complex_numIdES1_PKPKS1_PKPS1_EviiT1_lT2_lllSA_lllT3_lmli
	.p2align	8
	.type	_ZL19rocblas_sger_kernelILi1024E19rocblas_complex_numIdES1_PKPKS1_PKPS1_EviiT1_lT2_lllSA_lllT3_lmli,@function
_ZL19rocblas_sger_kernelILi1024E19rocblas_complex_numIdES1_PKPKS1_PKPS1_EviiT1_lT2_lllSA_lllT3_lmli: ; @_ZL19rocblas_sger_kernelILi1024E19rocblas_complex_numIdES1_PKPKS1_PKPS1_EviiT1_lT2_lllSA_lllT3_lmli
; %bb.0:
	s_load_b32 s3, s[0:1], 0x80
	s_bfe_u32 s2, ttmp6, 0x40014
	s_lshr_b32 s4, ttmp7, 16
	s_add_co_i32 s2, s2, 1
	s_bfe_u32 s5, ttmp6, 0x40008
	s_mul_i32 s2, s4, s2
	s_getreg_b32 s14, hwreg(HW_REG_IB_STS2, 6, 4)
	s_add_co_i32 s5, s5, s2
	s_cmp_eq_u32 s14, 0
	s_cselect_b32 s18, s4, s5
	s_wait_kmcnt 0x0
	s_cmp_ge_u32 s18, s3
	s_cbranch_scc1 .LBB59_8
; %bb.1:
	s_clause 0x3
	s_load_b128 s[4:7], s[0:1], 0x8
	s_load_b128 s[8:11], s[0:1], 0x28
	s_load_b32 s19, s[0:1], 0x0
	s_load_b64 s[12:13], s[0:1], 0x20
	s_bfe_u32 s2, ttmp6, 0x4000c
	s_and_b32 s17, ttmp6, 15
	s_add_co_i32 s2, s2, 1
	s_load_b128 s[24:27], s[0:1], 0x68
	s_mul_i32 s2, ttmp9, s2
	s_load_b128 s[28:31], s[0:1], 0x48
	s_add_co_i32 s17, s17, s2
	s_wait_kmcnt 0x0
	v_cmp_neq_f64_e64 s15, s[4:5], 0
	v_cmp_neq_f64_e64 s16, s[6:7], 0
	v_cmp_gt_i32_e64 s2, s19, v0
	v_mov_b32_e32 v3, 0
	s_delay_alu instid0(VALU_DEP_1) | instskip(NEXT) | instid1(VALU_DEP_1)
	v_mov_b32_e32 v1, v3
	v_mul_u64_e32 v[6:7], s[10:11], v[0:1]
	s_delay_alu instid0(VALU_DEP_4) | instskip(NEXT) | instid1(VALU_DEP_1)
	v_cndmask_b32_e64 v1, 0, v0, s2
	v_lshlrev_b32_e32 v2, 4, v1
	s_or_b32 s20, s15, s16
	s_cmp_eq_u32 s14, 0
	s_load_b64 s[14:15], s[0:1], 0x60
	s_cselect_b32 s16, ttmp9, s17
	s_wait_xcnt 0x0
	s_load_b64 s[0:1], s[0:1], 0x40
	s_ashr_i32 s17, s16, 31
	s_lshl_b64 s[24:25], s[24:25], 4
	s_mul_u64 s[22:23], s[26:27], s[16:17]
	s_lshl_b64 s[8:9], s[8:9], 4
	s_lshl_b64 s[22:23], s[22:23], 4
	s_mul_u64 s[16:17], s[30:31], s[16:17]
	s_add_nc_u64 s[22:23], s[22:23], s[24:25]
	s_delay_alu instid0(VALU_DEP_3)
	v_lshl_add_u64 v[6:7], v[6:7], 4, s[8:9]
	v_add_nc_u64_e32 v[4:5], s[22:23], v[2:3]
	s_lshl_b64 s[8:9], s[10:11], 14
	s_lshl_b64 s[10:11], s[28:29], 4
	;; [unrolled: 1-line block ×3, first 2 shown]
	v_or_b32_e32 v6, 8, v6
	s_delay_alu instid0(VALU_DEP_2)
	v_or_b32_e32 v4, 8, v4
	s_branch .LBB59_4
.LBB59_2:                               ;   in Loop: Header=BB59_4 Depth=1
	s_or_b32 exec_lo, exec_lo, s21
.LBB59_3:                               ;   in Loop: Header=BB59_4 Depth=1
	s_add_co_i32 s18, s18, 0x10000
	s_delay_alu instid0(SALU_CYCLE_1)
	s_cmp_lt_u32 s18, s3
	s_cbranch_scc0 .LBB59_8
.LBB59_4:                               ; =>This Loop Header: Depth=1
                                        ;     Child Loop BB59_7 Depth 2
	s_and_not1_b32 vcc_lo, exec_lo, s20
	s_cbranch_vccnz .LBB59_3
; %bb.5:                                ;   in Loop: Header=BB59_4 Depth=1
	s_and_saveexec_b32 s21, s2
	s_cbranch_execz .LBB59_2
; %bb.6:                                ;   in Loop: Header=BB59_4 Depth=1
	s_wait_kmcnt 0x0
	s_load_b64 s[22:23], s[0:1], s18 offset:0x0 scale_offset
	v_mov_b32_e32 v1, v0
	s_wait_kmcnt 0x0
	s_add_nc_u64 s[22:23], s[22:23], s[10:11]
	s_delay_alu instid0(SALU_CYCLE_1)
	s_add_nc_u64 s[22:23], s[22:23], s[16:17]
	flat_load_b128 v[12:15], v3, s[22:23]
	s_wait_xcnt 0x0
	s_load_b64 s[22:23], s[14:15], s18 offset:0x0 scale_offset
	s_load_b64 s[24:25], s[12:13], s18 offset:0x0 scale_offset
	s_wait_loadcnt_dscnt 0x0
	v_mul_f64_e32 v[10:11], s[6:7], v[14:15]
	v_mul_f64_e32 v[8:9], s[4:5], v[14:15]
	s_wait_kmcnt 0x0
	v_add_nc_u64_e32 v[14:15], s[24:25], v[6:7]
	s_delay_alu instid0(VALU_DEP_3) | instskip(NEXT) | instid1(VALU_DEP_3)
	v_fma_f64 v[10:11], s[4:5], v[12:13], -v[10:11]
	v_fmac_f64_e32 v[8:9], s[6:7], v[12:13]
	v_add_nc_u64_e32 v[12:13], s[22:23], v[4:5]
	s_mov_b32 s22, 0
.LBB59_7:                               ;   Parent Loop BB59_4 Depth=1
                                        ; =>  This Inner Loop Header: Depth=2
	flat_load_b128 v[16:19], v[14:15] offset:-8
	flat_load_b128 v[20:23], v[12:13] offset:-8
	v_add_nc_u32_e32 v1, 0x400, v1
	s_wait_xcnt 0x1
	v_add_nc_u64_e32 v[14:15], s[8:9], v[14:15]
	s_delay_alu instid0(VALU_DEP_2) | instskip(SKIP_4) | instid1(VALU_DEP_2)
	v_cmp_le_i32_e32 vcc_lo, s19, v1
	s_or_b32 s22, vcc_lo, s22
	s_wait_loadcnt_dscnt 0x101
	v_mul_f64_e32 v[24:25], v[8:9], v[18:19]
	v_mul_f64_e32 v[18:19], v[10:11], v[18:19]
	v_fma_f64 v[24:25], v[10:11], v[16:17], -v[24:25]
	s_delay_alu instid0(VALU_DEP_2) | instskip(SKIP_1) | instid1(VALU_DEP_2)
	v_fmac_f64_e32 v[18:19], v[8:9], v[16:17]
	s_wait_loadcnt_dscnt 0x0
	v_add_f64_e32 v[16:17], v[20:21], v[24:25]
	s_delay_alu instid0(VALU_DEP_2)
	v_add_f64_e32 v[18:19], v[18:19], v[22:23]
	flat_store_b128 v[12:13], v[16:19] offset:-8
	s_wait_xcnt 0x0
	v_add_nc_u64_e32 v[12:13], 0x4000, v[12:13]
	s_and_not1_b32 exec_lo, exec_lo, s22
	s_cbranch_execnz .LBB59_7
	s_branch .LBB59_2
.LBB59_8:
	s_endpgm
	.section	.rodata,"a",@progbits
	.p2align	6, 0x0
	.amdhsa_kernel _ZL19rocblas_sger_kernelILi1024E19rocblas_complex_numIdES1_PKPKS1_PKPS1_EviiT1_lT2_lllSA_lllT3_lmli
		.amdhsa_group_segment_fixed_size 0
		.amdhsa_private_segment_fixed_size 0
		.amdhsa_kernarg_size 132
		.amdhsa_user_sgpr_count 2
		.amdhsa_user_sgpr_dispatch_ptr 0
		.amdhsa_user_sgpr_queue_ptr 0
		.amdhsa_user_sgpr_kernarg_segment_ptr 1
		.amdhsa_user_sgpr_dispatch_id 0
		.amdhsa_user_sgpr_kernarg_preload_length 0
		.amdhsa_user_sgpr_kernarg_preload_offset 0
		.amdhsa_user_sgpr_private_segment_size 0
		.amdhsa_wavefront_size32 1
		.amdhsa_uses_dynamic_stack 0
		.amdhsa_enable_private_segment 0
		.amdhsa_system_sgpr_workgroup_id_x 1
		.amdhsa_system_sgpr_workgroup_id_y 0
		.amdhsa_system_sgpr_workgroup_id_z 1
		.amdhsa_system_sgpr_workgroup_info 0
		.amdhsa_system_vgpr_workitem_id 0
		.amdhsa_next_free_vgpr 26
		.amdhsa_next_free_sgpr 32
		.amdhsa_named_barrier_count 0
		.amdhsa_reserve_vcc 1
		.amdhsa_float_round_mode_32 0
		.amdhsa_float_round_mode_16_64 0
		.amdhsa_float_denorm_mode_32 3
		.amdhsa_float_denorm_mode_16_64 3
		.amdhsa_fp16_overflow 0
		.amdhsa_memory_ordered 1
		.amdhsa_forward_progress 1
		.amdhsa_inst_pref_size 5
		.amdhsa_round_robin_scheduling 0
		.amdhsa_exception_fp_ieee_invalid_op 0
		.amdhsa_exception_fp_denorm_src 0
		.amdhsa_exception_fp_ieee_div_zero 0
		.amdhsa_exception_fp_ieee_overflow 0
		.amdhsa_exception_fp_ieee_underflow 0
		.amdhsa_exception_fp_ieee_inexact 0
		.amdhsa_exception_int_div_zero 0
	.end_amdhsa_kernel
	.section	.text._ZL19rocblas_sger_kernelILi1024E19rocblas_complex_numIdES1_PKPKS1_PKPS1_EviiT1_lT2_lllSA_lllT3_lmli,"axG",@progbits,_ZL19rocblas_sger_kernelILi1024E19rocblas_complex_numIdES1_PKPKS1_PKPS1_EviiT1_lT2_lllSA_lllT3_lmli,comdat
.Lfunc_end59:
	.size	_ZL19rocblas_sger_kernelILi1024E19rocblas_complex_numIdES1_PKPKS1_PKPS1_EviiT1_lT2_lllSA_lllT3_lmli, .Lfunc_end59-_ZL19rocblas_sger_kernelILi1024E19rocblas_complex_numIdES1_PKPKS1_PKPS1_EviiT1_lT2_lllSA_lllT3_lmli
                                        ; -- End function
	.set _ZL19rocblas_sger_kernelILi1024E19rocblas_complex_numIdES1_PKPKS1_PKPS1_EviiT1_lT2_lllSA_lllT3_lmli.num_vgpr, 26
	.set _ZL19rocblas_sger_kernelILi1024E19rocblas_complex_numIdES1_PKPKS1_PKPS1_EviiT1_lT2_lllSA_lllT3_lmli.num_agpr, 0
	.set _ZL19rocblas_sger_kernelILi1024E19rocblas_complex_numIdES1_PKPKS1_PKPS1_EviiT1_lT2_lllSA_lllT3_lmli.numbered_sgpr, 32
	.set _ZL19rocblas_sger_kernelILi1024E19rocblas_complex_numIdES1_PKPKS1_PKPS1_EviiT1_lT2_lllSA_lllT3_lmli.num_named_barrier, 0
	.set _ZL19rocblas_sger_kernelILi1024E19rocblas_complex_numIdES1_PKPKS1_PKPS1_EviiT1_lT2_lllSA_lllT3_lmli.private_seg_size, 0
	.set _ZL19rocblas_sger_kernelILi1024E19rocblas_complex_numIdES1_PKPKS1_PKPS1_EviiT1_lT2_lllSA_lllT3_lmli.uses_vcc, 1
	.set _ZL19rocblas_sger_kernelILi1024E19rocblas_complex_numIdES1_PKPKS1_PKPS1_EviiT1_lT2_lllSA_lllT3_lmli.uses_flat_scratch, 0
	.set _ZL19rocblas_sger_kernelILi1024E19rocblas_complex_numIdES1_PKPKS1_PKPS1_EviiT1_lT2_lllSA_lllT3_lmli.has_dyn_sized_stack, 0
	.set _ZL19rocblas_sger_kernelILi1024E19rocblas_complex_numIdES1_PKPKS1_PKPS1_EviiT1_lT2_lllSA_lllT3_lmli.has_recursion, 0
	.set _ZL19rocblas_sger_kernelILi1024E19rocblas_complex_numIdES1_PKPKS1_PKPS1_EviiT1_lT2_lllSA_lllT3_lmli.has_indirect_call, 0
	.section	.AMDGPU.csdata,"",@progbits
; Kernel info:
; codeLenInByte = 588
; TotalNumSgprs: 34
; NumVgprs: 26
; ScratchSize: 0
; MemoryBound: 0
; FloatMode: 240
; IeeeMode: 1
; LDSByteSize: 0 bytes/workgroup (compile time only)
; SGPRBlocks: 0
; VGPRBlocks: 1
; NumSGPRsForWavesPerEU: 34
; NumVGPRsForWavesPerEU: 26
; NamedBarCnt: 0
; Occupancy: 16
; WaveLimiterHint : 1
; COMPUTE_PGM_RSRC2:SCRATCH_EN: 0
; COMPUTE_PGM_RSRC2:USER_SGPR: 2
; COMPUTE_PGM_RSRC2:TRAP_HANDLER: 0
; COMPUTE_PGM_RSRC2:TGID_X_EN: 1
; COMPUTE_PGM_RSRC2:TGID_Y_EN: 0
; COMPUTE_PGM_RSRC2:TGID_Z_EN: 1
; COMPUTE_PGM_RSRC2:TIDIG_COMP_CNT: 0
	.section	.text._ZL18rocblas_ger_kernelILi32ELi32ELi2ELb0E19rocblas_complex_numIdEPKS1_PKS3_PKPS1_EviiT4_lT5_lllSA_lllT6_lmli,"axG",@progbits,_ZL18rocblas_ger_kernelILi32ELi32ELi2ELb0E19rocblas_complex_numIdEPKS1_PKS3_PKPS1_EviiT4_lT5_lllSA_lllT6_lmli,comdat
	.globl	_ZL18rocblas_ger_kernelILi32ELi32ELi2ELb0E19rocblas_complex_numIdEPKS1_PKS3_PKPS1_EviiT4_lT5_lllSA_lllT6_lmli ; -- Begin function _ZL18rocblas_ger_kernelILi32ELi32ELi2ELb0E19rocblas_complex_numIdEPKS1_PKS3_PKPS1_EviiT4_lT5_lllSA_lllT6_lmli
	.p2align	8
	.type	_ZL18rocblas_ger_kernelILi32ELi32ELi2ELb0E19rocblas_complex_numIdEPKS1_PKS3_PKPS1_EviiT4_lT5_lllSA_lllT6_lmli,@function
_ZL18rocblas_ger_kernelILi32ELi32ELi2ELb0E19rocblas_complex_numIdEPKS1_PKS3_PKPS1_EviiT4_lT5_lllSA_lllT6_lmli: ; @_ZL18rocblas_ger_kernelILi32ELi32ELi2ELb0E19rocblas_complex_numIdEPKS1_PKS3_PKPS1_EviiT4_lT5_lllSA_lllT6_lmli
; %bb.0:
	s_load_b32 s30, s[0:1], 0x78
	s_bfe_u32 s2, ttmp6, 0x40014
	s_lshr_b32 s3, ttmp7, 16
	s_add_co_i32 s2, s2, 1
	s_bfe_u32 s5, ttmp6, 0x40008
	s_mul_i32 s4, s3, s2
	s_getreg_b32 s2, hwreg(HW_REG_IB_STS2, 6, 4)
	s_add_co_i32 s5, s5, s4
	s_cmp_eq_u32 s2, 0
	s_mov_b32 s25, 0
	s_cselect_b32 s24, s3, s5
	s_wait_kmcnt 0x0
	s_cmp_ge_u32 s24, s30
	s_cbranch_scc1 .LBB60_18
; %bb.1:
	s_clause 0x1
	s_load_b64 s[4:5], s[0:1], 0x0
	s_load_b128 s[8:11], s[0:1], 0x8
	s_bfe_u32 s13, ttmp6, 0x4000c
	s_and_b32 s12, ttmp6, 15
	s_add_co_i32 s13, s13, 1
	v_bfe_u32 v4, v0, 10, 10
	s_mul_i32 s13, ttmp9, s13
	s_load_b128 s[20:23], s[0:1], 0x60
	s_add_co_i32 s16, s12, s13
	s_load_b128 s[12:15], s[0:1], 0x20
	v_and_b32_e32 v5, 0x3ff, v0
	v_dual_mov_b32 v11, 0 :: v_dual_lshlrev_b32 v20, 5, v4
	s_wait_kmcnt 0x0
	s_add_co_i32 s3, s4, -1
	s_delay_alu instid0(SALU_CYCLE_1) | instskip(NEXT) | instid1(SALU_CYCLE_1)
	s_ashr_i32 s6, s3, 31
	s_lshr_b32 s6, s6, 27
	s_delay_alu instid0(SALU_CYCLE_1) | instskip(NEXT) | instid1(SALU_CYCLE_1)
	s_add_co_i32 s3, s3, s6
	s_ashr_i32 s3, s3, 5
	s_delay_alu instid0(SALU_CYCLE_1) | instskip(SKIP_2) | instid1(SALU_CYCLE_3)
	s_add_co_i32 s6, s3, 1
	s_not_b32 s3, s3
	s_cvt_f32_u32 s7, s6
	v_rcp_iflag_f32_e32 v1, s7
	v_nop
	s_delay_alu instid0(TRANS32_DEP_1) | instskip(SKIP_2) | instid1(SALU_CYCLE_3)
	v_readfirstlane_b32 s7, v1
	v_lshlrev_b32_e32 v1, 1, v4
	s_mul_f32 s7, s7, 0x4f7ffffe
	s_cvt_u32_f32 s7, s7
	s_delay_alu instid0(SALU_CYCLE_3) | instskip(NEXT) | instid1(SALU_CYCLE_1)
	s_mul_i32 s3, s3, s7
	s_mul_hi_u32 s3, s7, s3
	s_delay_alu instid0(SALU_CYCLE_1) | instskip(SKIP_4) | instid1(SALU_CYCLE_1)
	s_add_co_i32 s7, s7, s3
	s_cmp_eq_u32 s2, 0
	s_cselect_b32 s2, ttmp9, s16
	s_load_b128 s[16:19], s[0:1], 0x40
	s_mul_hi_u32 s3, s2, s7
	s_mul_i32 s7, s3, s6
	s_add_co_i32 s26, s3, 1
	s_sub_co_i32 s7, s2, s7
	s_delay_alu instid0(SALU_CYCLE_1)
	s_sub_co_i32 s27, s7, s6
	s_cmp_ge_u32 s7, s6
	s_cselect_b32 s3, s26, s3
	s_cselect_b32 s7, s27, s7
	s_add_co_i32 s26, s3, 1
	s_cmp_ge_u32 s7, s6
	s_cselect_b32 s3, s26, s3
	s_lshl_b64 s[12:13], s[12:13], 4
	v_lshl_add_u32 v0, s3, 6, v1
	s_mul_i32 s6, s3, s6
	s_lshl_b64 s[20:21], s[20:21], 4
	s_sub_co_i32 s2, s2, s6
	s_wait_kmcnt 0x0
	s_lshl_b64 s[16:17], s[16:17], 4
	v_lshl_add_u32 v8, s2, 5, v5
	v_dual_ashrrev_i32 v1, 31, v0 :: v_dual_bitop2_b32 v2, 1, v0 bitop3:0x54
	v_or_b32_e32 v10, v0, v5
	v_cmp_gt_u32_e64 s2, 2, v5
	s_delay_alu instid0(VALU_DEP_3) | instskip(NEXT) | instid1(VALU_DEP_4)
	v_dual_ashrrev_i32 v9, 31, v8 :: v_dual_ashrrev_i32 v3, 31, v2
	v_mul_u64_e32 v[16:17], s[22:23], v[0:1]
	s_delay_alu instid0(VALU_DEP_4) | instskip(SKIP_1) | instid1(VALU_DEP_4)
	v_mul_u64_e32 v[12:13], s[18:19], v[10:11]
	v_lshlrev_b32_e32 v1, 4, v5
	v_mul_u64_e32 v[14:15], s[14:15], v[8:9]
	v_mul_u64_e32 v[18:19], s[22:23], v[2:3]
	s_clause 0x2
	s_load_b64 s[14:15], s[0:1], 0x58
	s_load_b64 s[18:19], s[0:1], 0x18
	;; [unrolled: 1-line block ×3, first 2 shown]
	s_wait_xcnt 0x0
	v_cmp_eq_u32_e64 s0, 0, v4
	v_cmp_gt_i32_e64 s1, s4, v8
	v_add_nc_u32_e32 v21, 0x400, v1
	v_cmp_gt_u32_e64 s3, s5, v10
	v_add_nc_u32_e32 v10, v20, v1
	v_cmp_gt_i32_e64 s4, s5, v0
	v_cmp_gt_i32_e64 s5, s5, v2
	s_branch .LBB60_4
.LBB60_2:                               ;   in Loop: Header=BB60_4 Depth=1
	s_wait_xcnt 0x0
	s_or_b32 exec_lo, exec_lo, s26
.LBB60_3:                               ;   in Loop: Header=BB60_4 Depth=1
	s_add_co_i32 s24, s24, 0x10000
	s_delay_alu instid0(SALU_CYCLE_1)
	s_cmp_lt_u32 s24, s30
	s_cbranch_scc0 .LBB60_18
.LBB60_4:                               ; =>This Inner Loop Header: Depth=1
	s_mul_u64 s[6:7], s[10:11], s[24:25]
	s_delay_alu instid0(SALU_CYCLE_1) | instskip(NEXT) | instid1(SALU_CYCLE_1)
	s_lshl_b64 s[6:7], s[6:7], 4
	s_add_nc_u64 s[6:7], s[8:9], s[6:7]
	global_load_b128 v[0:3], v11, s[6:7]
	s_wait_loadcnt 0x0
	v_cmp_neq_f64_e32 vcc_lo, 0, v[0:1]
	s_wait_xcnt 0x0
	v_cmp_neq_f64_e64 s6, 0, v[2:3]
	s_or_b32 s6, vcc_lo, s6
	s_delay_alu instid0(SALU_CYCLE_1)
	s_and_not1_b32 vcc_lo, exec_lo, s6
	s_cbranch_vccnz .LBB60_3
; %bb.5:                                ;   in Loop: Header=BB60_4 Depth=1
	s_lshl_b64 s[28:29], s[24:25], 3
	s_wait_kmcnt 0x0
	s_add_nc_u64 s[34:35], s[22:23], s[28:29]
	s_add_nc_u64 s[36:37], s[14:15], s[28:29]
	s_load_b64 s[26:27], s[34:35], 0x0
	s_load_b64 s[6:7], s[36:37], 0x0
	s_and_saveexec_b32 s31, s0
	s_cbranch_execz .LBB60_9
; %bb.6:                                ;   in Loop: Header=BB60_4 Depth=1
	v_mov_b64_e32 v[4:5], 0
	v_mov_b64_e32 v[6:7], 0
	s_and_saveexec_b32 s33, s1
	s_cbranch_execz .LBB60_8
; %bb.7:                                ;   in Loop: Header=BB60_4 Depth=1
	s_add_nc_u64 s[28:29], s[18:19], s[28:29]
	s_load_b64 s[28:29], s[28:29], 0x0
	s_wait_kmcnt 0x0
	s_wait_xcnt 0x0
	s_add_nc_u64 s[28:29], s[28:29], s[12:13]
	s_delay_alu instid0(SALU_CYCLE_1)
	v_lshl_add_u64 v[4:5], v[14:15], 4, s[28:29]
	flat_load_b128 v[4:7], v[4:5]
.LBB60_8:                               ;   in Loop: Header=BB60_4 Depth=1
	s_wait_xcnt 0x0
	s_or_b32 exec_lo, exec_lo, s33
	s_wait_loadcnt_dscnt 0x0
	ds_store_b128 v21, v[4:7]
.LBB60_9:                               ;   in Loop: Header=BB60_4 Depth=1
	s_or_b32 exec_lo, exec_lo, s31
	s_and_saveexec_b32 s28, s2
	s_cbranch_execz .LBB60_13
; %bb.10:                               ;   in Loop: Header=BB60_4 Depth=1
	v_mov_b64_e32 v[4:5], 0
	v_mov_b64_e32 v[6:7], 0
	s_and_saveexec_b32 s29, s3
	s_cbranch_execz .LBB60_12
; %bb.11:                               ;   in Loop: Header=BB60_4 Depth=1
	s_wait_kmcnt 0x0
	s_add_nc_u64 s[26:27], s[26:27], s[16:17]
	s_delay_alu instid0(SALU_CYCLE_1)
	v_lshl_add_u64 v[4:5], v[12:13], 4, s[26:27]
	flat_load_b128 v[4:7], v[4:5]
.LBB60_12:                              ;   in Loop: Header=BB60_4 Depth=1
	s_wait_xcnt 0x0
	s_or_b32 exec_lo, exec_lo, s29
	s_wait_loadcnt_dscnt 0x0
	ds_store_b128 v10, v[4:7]
.LBB60_13:                              ;   in Loop: Header=BB60_4 Depth=1
	s_or_b32 exec_lo, exec_lo, s28
	s_wait_dscnt 0x0
	s_barrier_signal -1
	s_barrier_wait -1
	s_wait_kmcnt 0x0
	s_and_saveexec_b32 s26, s1
	s_cbranch_execz .LBB60_2
; %bb.14:                               ;   in Loop: Header=BB60_4 Depth=1
	ds_load_b128 v[22:25], v21
	s_add_nc_u64 s[6:7], s[6:7], s[20:21]
	s_wait_dscnt 0x0
	v_mul_f64_e32 v[6:7], v[2:3], v[24:25]
	v_mul_f64_e32 v[4:5], v[0:1], v[24:25]
	s_delay_alu instid0(VALU_DEP_2) | instskip(NEXT) | instid1(VALU_DEP_2)
	v_fma_f64 v[0:1], v[0:1], v[22:23], -v[6:7]
	v_fmac_f64_e32 v[4:5], v[2:3], v[22:23]
	v_lshl_add_u64 v[2:3], v[8:9], 4, s[6:7]
	s_and_saveexec_b32 s6, s4
	s_cbranch_execz .LBB60_16
; %bb.15:                               ;   in Loop: Header=BB60_4 Depth=1
	s_delay_alu instid0(VALU_DEP_1)
	v_lshl_add_u64 v[6:7], v[16:17], 4, v[2:3]
	ds_load_b128 v[26:29], v20
	flat_load_b128 v[22:25], v[6:7]
	s_wait_dscnt 0x1
	v_mul_f64_e32 v[30:31], v[4:5], v[28:29]
	v_mul_f64_e32 v[28:29], v[0:1], v[28:29]
	s_delay_alu instid0(VALU_DEP_2) | instskip(NEXT) | instid1(VALU_DEP_2)
	v_fma_f64 v[30:31], v[0:1], v[26:27], -v[30:31]
	v_fmac_f64_e32 v[28:29], v[4:5], v[26:27]
	s_wait_loadcnt_dscnt 0x0
	s_delay_alu instid0(VALU_DEP_2) | instskip(NEXT) | instid1(VALU_DEP_2)
	v_add_f64_e32 v[22:23], v[22:23], v[30:31]
	v_add_f64_e32 v[24:25], v[28:29], v[24:25]
	flat_store_b128 v[6:7], v[22:25]
.LBB60_16:                              ;   in Loop: Header=BB60_4 Depth=1
	s_wait_xcnt 0x0
	s_or_b32 exec_lo, exec_lo, s6
	s_delay_alu instid0(SALU_CYCLE_1)
	s_and_b32 exec_lo, exec_lo, s5
	s_cbranch_execz .LBB60_2
; %bb.17:                               ;   in Loop: Header=BB60_4 Depth=1
	v_lshl_add_u64 v[6:7], v[18:19], 4, v[2:3]
	ds_load_b128 v[26:29], v20 offset:16
	flat_load_b128 v[22:25], v[6:7]
	s_wait_dscnt 0x1
	v_mul_f64_e32 v[2:3], v[4:5], v[28:29]
	v_mul_f64_e32 v[28:29], v[0:1], v[28:29]
	s_delay_alu instid0(VALU_DEP_2) | instskip(NEXT) | instid1(VALU_DEP_2)
	v_fma_f64 v[0:1], v[0:1], v[26:27], -v[2:3]
	v_fmac_f64_e32 v[28:29], v[4:5], v[26:27]
	s_wait_loadcnt_dscnt 0x0
	s_delay_alu instid0(VALU_DEP_2) | instskip(NEXT) | instid1(VALU_DEP_2)
	v_add_f64_e32 v[0:1], v[22:23], v[0:1]
	v_add_f64_e32 v[2:3], v[28:29], v[24:25]
	flat_store_b128 v[6:7], v[0:3]
	s_branch .LBB60_2
.LBB60_18:
	s_endpgm
	.section	.rodata,"a",@progbits
	.p2align	6, 0x0
	.amdhsa_kernel _ZL18rocblas_ger_kernelILi32ELi32ELi2ELb0E19rocblas_complex_numIdEPKS1_PKS3_PKPS1_EviiT4_lT5_lllSA_lllT6_lmli
		.amdhsa_group_segment_fixed_size 1536
		.amdhsa_private_segment_fixed_size 0
		.amdhsa_kernarg_size 124
		.amdhsa_user_sgpr_count 2
		.amdhsa_user_sgpr_dispatch_ptr 0
		.amdhsa_user_sgpr_queue_ptr 0
		.amdhsa_user_sgpr_kernarg_segment_ptr 1
		.amdhsa_user_sgpr_dispatch_id 0
		.amdhsa_user_sgpr_kernarg_preload_length 0
		.amdhsa_user_sgpr_kernarg_preload_offset 0
		.amdhsa_user_sgpr_private_segment_size 0
		.amdhsa_wavefront_size32 1
		.amdhsa_uses_dynamic_stack 0
		.amdhsa_enable_private_segment 0
		.amdhsa_system_sgpr_workgroup_id_x 1
		.amdhsa_system_sgpr_workgroup_id_y 0
		.amdhsa_system_sgpr_workgroup_id_z 1
		.amdhsa_system_sgpr_workgroup_info 0
		.amdhsa_system_vgpr_workitem_id 1
		.amdhsa_next_free_vgpr 32
		.amdhsa_next_free_sgpr 38
		.amdhsa_named_barrier_count 0
		.amdhsa_reserve_vcc 1
		.amdhsa_float_round_mode_32 0
		.amdhsa_float_round_mode_16_64 0
		.amdhsa_float_denorm_mode_32 3
		.amdhsa_float_denorm_mode_16_64 3
		.amdhsa_fp16_overflow 0
		.amdhsa_memory_ordered 1
		.amdhsa_forward_progress 1
		.amdhsa_inst_pref_size 9
		.amdhsa_round_robin_scheduling 0
		.amdhsa_exception_fp_ieee_invalid_op 0
		.amdhsa_exception_fp_denorm_src 0
		.amdhsa_exception_fp_ieee_div_zero 0
		.amdhsa_exception_fp_ieee_overflow 0
		.amdhsa_exception_fp_ieee_underflow 0
		.amdhsa_exception_fp_ieee_inexact 0
		.amdhsa_exception_int_div_zero 0
	.end_amdhsa_kernel
	.section	.text._ZL18rocblas_ger_kernelILi32ELi32ELi2ELb0E19rocblas_complex_numIdEPKS1_PKS3_PKPS1_EviiT4_lT5_lllSA_lllT6_lmli,"axG",@progbits,_ZL18rocblas_ger_kernelILi32ELi32ELi2ELb0E19rocblas_complex_numIdEPKS1_PKS3_PKPS1_EviiT4_lT5_lllSA_lllT6_lmli,comdat
.Lfunc_end60:
	.size	_ZL18rocblas_ger_kernelILi32ELi32ELi2ELb0E19rocblas_complex_numIdEPKS1_PKS3_PKPS1_EviiT4_lT5_lllSA_lllT6_lmli, .Lfunc_end60-_ZL18rocblas_ger_kernelILi32ELi32ELi2ELb0E19rocblas_complex_numIdEPKS1_PKS3_PKPS1_EviiT4_lT5_lllSA_lllT6_lmli
                                        ; -- End function
	.set _ZL18rocblas_ger_kernelILi32ELi32ELi2ELb0E19rocblas_complex_numIdEPKS1_PKS3_PKPS1_EviiT4_lT5_lllSA_lllT6_lmli.num_vgpr, 32
	.set _ZL18rocblas_ger_kernelILi32ELi32ELi2ELb0E19rocblas_complex_numIdEPKS1_PKS3_PKPS1_EviiT4_lT5_lllSA_lllT6_lmli.num_agpr, 0
	.set _ZL18rocblas_ger_kernelILi32ELi32ELi2ELb0E19rocblas_complex_numIdEPKS1_PKS3_PKPS1_EviiT4_lT5_lllSA_lllT6_lmli.numbered_sgpr, 38
	.set _ZL18rocblas_ger_kernelILi32ELi32ELi2ELb0E19rocblas_complex_numIdEPKS1_PKS3_PKPS1_EviiT4_lT5_lllSA_lllT6_lmli.num_named_barrier, 0
	.set _ZL18rocblas_ger_kernelILi32ELi32ELi2ELb0E19rocblas_complex_numIdEPKS1_PKS3_PKPS1_EviiT4_lT5_lllSA_lllT6_lmli.private_seg_size, 0
	.set _ZL18rocblas_ger_kernelILi32ELi32ELi2ELb0E19rocblas_complex_numIdEPKS1_PKS3_PKPS1_EviiT4_lT5_lllSA_lllT6_lmli.uses_vcc, 1
	.set _ZL18rocblas_ger_kernelILi32ELi32ELi2ELb0E19rocblas_complex_numIdEPKS1_PKS3_PKPS1_EviiT4_lT5_lllSA_lllT6_lmli.uses_flat_scratch, 0
	.set _ZL18rocblas_ger_kernelILi32ELi32ELi2ELb0E19rocblas_complex_numIdEPKS1_PKS3_PKPS1_EviiT4_lT5_lllSA_lllT6_lmli.has_dyn_sized_stack, 0
	.set _ZL18rocblas_ger_kernelILi32ELi32ELi2ELb0E19rocblas_complex_numIdEPKS1_PKS3_PKPS1_EviiT4_lT5_lllSA_lllT6_lmli.has_recursion, 0
	.set _ZL18rocblas_ger_kernelILi32ELi32ELi2ELb0E19rocblas_complex_numIdEPKS1_PKS3_PKPS1_EviiT4_lT5_lllSA_lllT6_lmli.has_indirect_call, 0
	.section	.AMDGPU.csdata,"",@progbits
; Kernel info:
; codeLenInByte = 1088
; TotalNumSgprs: 40
; NumVgprs: 32
; ScratchSize: 0
; MemoryBound: 1
; FloatMode: 240
; IeeeMode: 1
; LDSByteSize: 1536 bytes/workgroup (compile time only)
; SGPRBlocks: 0
; VGPRBlocks: 1
; NumSGPRsForWavesPerEU: 40
; NumVGPRsForWavesPerEU: 32
; NamedBarCnt: 0
; Occupancy: 16
; WaveLimiterHint : 1
; COMPUTE_PGM_RSRC2:SCRATCH_EN: 0
; COMPUTE_PGM_RSRC2:USER_SGPR: 2
; COMPUTE_PGM_RSRC2:TRAP_HANDLER: 0
; COMPUTE_PGM_RSRC2:TGID_X_EN: 1
; COMPUTE_PGM_RSRC2:TGID_Y_EN: 0
; COMPUTE_PGM_RSRC2:TGID_Z_EN: 1
; COMPUTE_PGM_RSRC2:TIDIG_COMP_CNT: 1
	.section	.text._ZL18rocblas_ger_kernelILi32ELi32ELi2ELb0E19rocblas_complex_numIdES1_PKPKS1_PKPS1_EviiT4_lT5_lllSA_lllT6_lmli,"axG",@progbits,_ZL18rocblas_ger_kernelILi32ELi32ELi2ELb0E19rocblas_complex_numIdES1_PKPKS1_PKPS1_EviiT4_lT5_lllSA_lllT6_lmli,comdat
	.globl	_ZL18rocblas_ger_kernelILi32ELi32ELi2ELb0E19rocblas_complex_numIdES1_PKPKS1_PKPS1_EviiT4_lT5_lllSA_lllT6_lmli ; -- Begin function _ZL18rocblas_ger_kernelILi32ELi32ELi2ELb0E19rocblas_complex_numIdES1_PKPKS1_PKPS1_EviiT4_lT5_lllSA_lllT6_lmli
	.p2align	8
	.type	_ZL18rocblas_ger_kernelILi32ELi32ELi2ELb0E19rocblas_complex_numIdES1_PKPKS1_PKPS1_EviiT4_lT5_lllSA_lllT6_lmli,@function
_ZL18rocblas_ger_kernelILi32ELi32ELi2ELb0E19rocblas_complex_numIdES1_PKPKS1_PKPS1_EviiT4_lT5_lllSA_lllT6_lmli: ; @_ZL18rocblas_ger_kernelILi32ELi32ELi2ELb0E19rocblas_complex_numIdES1_PKPKS1_PKPS1_EviiT4_lT5_lllSA_lllT6_lmli
; %bb.0:
	s_load_b32 s28, s[0:1], 0x80
	s_bfe_u32 s2, ttmp6, 0x40014
	s_lshr_b32 s3, ttmp7, 16
	s_add_co_i32 s2, s2, 1
	s_bfe_u32 s5, ttmp6, 0x40008
	s_mul_i32 s4, s3, s2
	s_getreg_b32 s2, hwreg(HW_REG_IB_STS2, 6, 4)
	s_add_co_i32 s5, s5, s4
	s_cmp_eq_u32 s2, 0
	s_mov_b32 s7, 0
	s_cselect_b32 s6, s3, s5
	s_wait_kmcnt 0x0
	s_cmp_ge_u32 s6, s28
	s_cbranch_scc1 .LBB61_18
; %bb.1:
	s_clause 0x1
	s_load_b64 s[4:5], s[0:1], 0x0
	s_load_b128 s[8:11], s[0:1], 0x8
	s_bfe_u32 s14, ttmp6, 0x4000c
	s_and_b32 s13, ttmp6, 15
	s_add_co_i32 s14, s14, 1
	v_bfe_u32 v16, v0, 10, 10
	s_mul_i32 s14, ttmp9, s14
	s_load_b128 s[20:23], s[0:1], 0x68
	s_add_co_i32 s16, s13, s14
	v_and_b32_e32 v18, 0x3ff, v0
	v_mov_b32_e32 v3, 0
	s_wait_kmcnt 0x0
	s_add_co_i32 s3, s4, -1
	s_delay_alu instid0(SALU_CYCLE_1) | instskip(NEXT) | instid1(SALU_CYCLE_1)
	s_ashr_i32 s12, s3, 31
	s_lshr_b32 s12, s12, 27
	s_delay_alu instid0(SALU_CYCLE_1) | instskip(NEXT) | instid1(SALU_CYCLE_1)
	s_add_co_i32 s3, s3, s12
	s_ashr_i32 s3, s3, 5
	s_delay_alu instid0(SALU_CYCLE_1) | instskip(SKIP_2) | instid1(SALU_CYCLE_3)
	s_add_co_i32 s24, s3, 1
	s_not_b32 s3, s3
	s_cvt_f32_u32 s12, s24
	v_rcp_iflag_f32_e32 v1, s12
	v_nop
	s_delay_alu instid0(TRANS32_DEP_1) | instskip(SKIP_2) | instid1(SALU_CYCLE_3)
	v_readfirstlane_b32 s12, v1
	v_lshlrev_b32_e32 v1, 1, v16
	s_mul_f32 s12, s12, 0x4f7ffffe
	s_cvt_u32_f32 s12, s12
	s_delay_alu instid0(SALU_CYCLE_3) | instskip(NEXT) | instid1(SALU_CYCLE_1)
	s_mul_i32 s3, s3, s12
	s_mul_hi_u32 s3, s12, s3
	s_delay_alu instid0(SALU_CYCLE_1)
	s_add_co_i32 s3, s12, s3
	s_cmp_eq_u32 s2, 0
	s_load_b128 s[12:15], s[0:1], 0x28
	s_cselect_b32 s2, ttmp9, s16
	s_load_b128 s[16:19], s[0:1], 0x48
	s_mul_hi_u32 s3, s2, s3
	s_delay_alu instid0(SALU_CYCLE_1) | instskip(SKIP_2) | instid1(SALU_CYCLE_1)
	s_mul_i32 s25, s3, s24
	s_add_co_i32 s26, s3, 1
	s_sub_co_i32 s25, s2, s25
	s_sub_co_i32 s27, s25, s24
	s_cmp_ge_u32 s25, s24
	s_cselect_b32 s3, s26, s3
	s_cselect_b32 s25, s27, s25
	s_add_co_i32 s26, s3, 1
	s_cmp_ge_u32 s25, s24
	v_cmp_neq_f64_e64 s25, s[10:11], 0
	s_cselect_b32 s3, s26, s3
	s_lshl_b64 s[20:21], s[20:21], 4
	v_lshl_add_u32 v0, s3, 6, v1
	s_mul_i32 s24, s3, s24
	s_wait_kmcnt 0x0
	s_lshl_b64 s[12:13], s[12:13], 4
	s_sub_co_i32 s2, s2, s24
	v_cmp_neq_f64_e64 s24, s[8:9], 0
	v_lshl_add_u32 v4, s2, 5, v18
	v_dual_ashrrev_i32 v1, 31, v0 :: v_dual_bitop2_b32 v14, 1, v0 bitop3:0x54
	v_or_b32_e32 v2, v0, v18
	v_cmp_gt_u32_e64 s2, 2, v18
	s_delay_alu instid0(VALU_DEP_3) | instskip(NEXT) | instid1(VALU_DEP_4)
	v_dual_ashrrev_i32 v5, 31, v4 :: v_dual_ashrrev_i32 v15, 31, v14
	v_mul_u64_e32 v[10:11], s[22:23], v[0:1]
	s_delay_alu instid0(VALU_DEP_4) | instskip(SKIP_1) | instid1(VALU_DEP_4)
	v_mul_u64_e32 v[6:7], s[18:19], v[2:3]
	v_lshlrev_b32_e32 v1, 4, v18
	v_mul_u64_e32 v[8:9], s[14:15], v[4:5]
	v_mul_u64_e32 v[12:13], s[22:23], v[14:15]
	s_clause 0x2
	s_load_b64 s[14:15], s[0:1], 0x60
	s_load_b64 s[18:19], s[0:1], 0x20
	;; [unrolled: 1-line block ×3, first 2 shown]
	s_wait_xcnt 0x0
	v_cmp_eq_u32_e64 s0, 0, v16
	v_lshlrev_b32_e32 v16, 5, v16
	v_cmp_gt_i32_e64 s1, s4, v4
	v_add_nc_u32_e32 v17, 0x400, v1
	v_cmp_gt_u32_e64 s3, s5, v2
	v_cmp_gt_i32_e64 s4, s5, v0
	v_add_nc_u32_e32 v18, v16, v1
	v_cmp_gt_i32_e64 s5, s5, v14
	s_lshl_b64 s[16:17], s[16:17], 4
	s_or_b32 s29, s24, s25
	s_branch .LBB61_4
.LBB61_2:                               ;   in Loop: Header=BB61_4 Depth=1
	s_wait_xcnt 0x0
	s_or_b32 exec_lo, exec_lo, s26
.LBB61_3:                               ;   in Loop: Header=BB61_4 Depth=1
	s_add_co_i32 s6, s6, 0x10000
	s_delay_alu instid0(SALU_CYCLE_1)
	s_cmp_lt_u32 s6, s28
	s_cbranch_scc0 .LBB61_18
.LBB61_4:                               ; =>This Inner Loop Header: Depth=1
	s_and_not1_b32 vcc_lo, exec_lo, s29
	s_cbranch_vccnz .LBB61_3
; %bb.5:                                ;   in Loop: Header=BB61_4 Depth=1
	s_wait_kmcnt 0x0
	s_load_b64 s[26:27], s[22:23], s6 offset:0x0 scale_offset
	s_load_b64 s[24:25], s[14:15], s6 offset:0x0 scale_offset
	s_and_saveexec_b32 s30, s0
	s_cbranch_execz .LBB61_9
; %bb.6:                                ;   in Loop: Header=BB61_4 Depth=1
	v_mov_b64_e32 v[0:1], 0
	v_mov_b64_e32 v[2:3], 0
	s_and_saveexec_b32 s31, s1
	s_cbranch_execz .LBB61_8
; %bb.7:                                ;   in Loop: Header=BB61_4 Depth=1
	s_lshl_b64 s[34:35], s[6:7], 3
	s_delay_alu instid0(SALU_CYCLE_1) | instskip(SKIP_4) | instid1(SALU_CYCLE_1)
	s_add_nc_u64 s[34:35], s[18:19], s[34:35]
	s_load_b64 s[34:35], s[34:35], 0x0
	s_wait_kmcnt 0x0
	s_wait_xcnt 0x0
	s_add_nc_u64 s[34:35], s[34:35], s[12:13]
	v_lshl_add_u64 v[0:1], v[8:9], 4, s[34:35]
	flat_load_b128 v[0:3], v[0:1]
.LBB61_8:                               ;   in Loop: Header=BB61_4 Depth=1
	s_wait_xcnt 0x0
	s_or_b32 exec_lo, exec_lo, s31
	s_wait_loadcnt_dscnt 0x0
	ds_store_b128 v17, v[0:3]
.LBB61_9:                               ;   in Loop: Header=BB61_4 Depth=1
	s_or_b32 exec_lo, exec_lo, s30
	s_and_saveexec_b32 s30, s2
	s_cbranch_execz .LBB61_13
; %bb.10:                               ;   in Loop: Header=BB61_4 Depth=1
	v_mov_b64_e32 v[0:1], 0
	v_mov_b64_e32 v[2:3], 0
	s_and_saveexec_b32 s31, s3
	s_cbranch_execz .LBB61_12
; %bb.11:                               ;   in Loop: Header=BB61_4 Depth=1
	s_wait_kmcnt 0x0
	s_add_nc_u64 s[26:27], s[26:27], s[16:17]
	s_delay_alu instid0(SALU_CYCLE_1)
	v_lshl_add_u64 v[0:1], v[6:7], 4, s[26:27]
	flat_load_b128 v[0:3], v[0:1]
.LBB61_12:                              ;   in Loop: Header=BB61_4 Depth=1
	s_wait_xcnt 0x0
	s_or_b32 exec_lo, exec_lo, s31
	s_wait_loadcnt_dscnt 0x0
	ds_store_b128 v18, v[0:3]
.LBB61_13:                              ;   in Loop: Header=BB61_4 Depth=1
	s_or_b32 exec_lo, exec_lo, s30
	s_wait_dscnt 0x0
	s_barrier_signal -1
	s_barrier_wait -1
	s_wait_kmcnt 0x0
	s_and_saveexec_b32 s26, s1
	s_cbranch_execz .LBB61_2
; %bb.14:                               ;   in Loop: Header=BB61_4 Depth=1
	ds_load_b128 v[20:23], v17
	s_add_nc_u64 s[24:25], s[24:25], s[20:21]
	s_delay_alu instid0(SALU_CYCLE_1) | instskip(SKIP_3) | instid1(VALU_DEP_2)
	v_lshl_add_u64 v[14:15], v[4:5], 4, s[24:25]
	s_wait_dscnt 0x0
	v_mul_f64_e32 v[2:3], s[10:11], v[22:23]
	v_mul_f64_e32 v[0:1], s[8:9], v[22:23]
	v_fma_f64 v[2:3], s[8:9], v[20:21], -v[2:3]
	s_delay_alu instid0(VALU_DEP_2)
	v_fmac_f64_e32 v[0:1], s[10:11], v[20:21]
	s_and_saveexec_b32 s24, s4
	s_cbranch_execz .LBB61_16
; %bb.15:                               ;   in Loop: Header=BB61_4 Depth=1
	v_lshl_add_u64 v[28:29], v[10:11], 4, v[14:15]
	ds_load_b128 v[24:27], v16
	flat_load_b128 v[20:23], v[28:29]
	s_wait_dscnt 0x1
	v_mul_f64_e32 v[30:31], v[0:1], v[26:27]
	v_mul_f64_e32 v[26:27], v[2:3], v[26:27]
	s_delay_alu instid0(VALU_DEP_2) | instskip(NEXT) | instid1(VALU_DEP_2)
	v_fma_f64 v[30:31], v[2:3], v[24:25], -v[30:31]
	v_fmac_f64_e32 v[26:27], v[0:1], v[24:25]
	s_wait_loadcnt_dscnt 0x0
	s_delay_alu instid0(VALU_DEP_2) | instskip(NEXT) | instid1(VALU_DEP_2)
	v_add_f64_e32 v[20:21], v[20:21], v[30:31]
	v_add_f64_e32 v[22:23], v[26:27], v[22:23]
	flat_store_b128 v[28:29], v[20:23]
.LBB61_16:                              ;   in Loop: Header=BB61_4 Depth=1
	s_wait_xcnt 0x0
	s_or_b32 exec_lo, exec_lo, s24
	s_delay_alu instid0(SALU_CYCLE_1)
	s_and_b32 exec_lo, exec_lo, s5
	s_cbranch_execz .LBB61_2
; %bb.17:                               ;   in Loop: Header=BB61_4 Depth=1
	v_lshl_add_u64 v[14:15], v[12:13], 4, v[14:15]
	ds_load_b128 v[24:27], v16 offset:16
	flat_load_b128 v[20:23], v[14:15]
	s_wait_dscnt 0x1
	v_mul_f64_e32 v[28:29], v[0:1], v[26:27]
	v_mul_f64_e32 v[26:27], v[2:3], v[26:27]
	s_delay_alu instid0(VALU_DEP_2) | instskip(NEXT) | instid1(VALU_DEP_2)
	v_fma_f64 v[2:3], v[2:3], v[24:25], -v[28:29]
	v_fmac_f64_e32 v[26:27], v[0:1], v[24:25]
	s_wait_loadcnt_dscnt 0x0
	s_delay_alu instid0(VALU_DEP_2) | instskip(NEXT) | instid1(VALU_DEP_2)
	v_add_f64_e32 v[0:1], v[20:21], v[2:3]
	v_add_f64_e32 v[2:3], v[26:27], v[22:23]
	flat_store_b128 v[14:15], v[0:3]
	s_branch .LBB61_2
.LBB61_18:
	s_endpgm
	.section	.rodata,"a",@progbits
	.p2align	6, 0x0
	.amdhsa_kernel _ZL18rocblas_ger_kernelILi32ELi32ELi2ELb0E19rocblas_complex_numIdES1_PKPKS1_PKPS1_EviiT4_lT5_lllSA_lllT6_lmli
		.amdhsa_group_segment_fixed_size 1536
		.amdhsa_private_segment_fixed_size 0
		.amdhsa_kernarg_size 132
		.amdhsa_user_sgpr_count 2
		.amdhsa_user_sgpr_dispatch_ptr 0
		.amdhsa_user_sgpr_queue_ptr 0
		.amdhsa_user_sgpr_kernarg_segment_ptr 1
		.amdhsa_user_sgpr_dispatch_id 0
		.amdhsa_user_sgpr_kernarg_preload_length 0
		.amdhsa_user_sgpr_kernarg_preload_offset 0
		.amdhsa_user_sgpr_private_segment_size 0
		.amdhsa_wavefront_size32 1
		.amdhsa_uses_dynamic_stack 0
		.amdhsa_enable_private_segment 0
		.amdhsa_system_sgpr_workgroup_id_x 1
		.amdhsa_system_sgpr_workgroup_id_y 0
		.amdhsa_system_sgpr_workgroup_id_z 1
		.amdhsa_system_sgpr_workgroup_info 0
		.amdhsa_system_vgpr_workitem_id 1
		.amdhsa_next_free_vgpr 32
		.amdhsa_next_free_sgpr 36
		.amdhsa_named_barrier_count 0
		.amdhsa_reserve_vcc 1
		.amdhsa_float_round_mode_32 0
		.amdhsa_float_round_mode_16_64 0
		.amdhsa_float_denorm_mode_32 3
		.amdhsa_float_denorm_mode_16_64 3
		.amdhsa_fp16_overflow 0
		.amdhsa_memory_ordered 1
		.amdhsa_forward_progress 1
		.amdhsa_inst_pref_size 9
		.amdhsa_round_robin_scheduling 0
		.amdhsa_exception_fp_ieee_invalid_op 0
		.amdhsa_exception_fp_denorm_src 0
		.amdhsa_exception_fp_ieee_div_zero 0
		.amdhsa_exception_fp_ieee_overflow 0
		.amdhsa_exception_fp_ieee_underflow 0
		.amdhsa_exception_fp_ieee_inexact 0
		.amdhsa_exception_int_div_zero 0
	.end_amdhsa_kernel
	.section	.text._ZL18rocblas_ger_kernelILi32ELi32ELi2ELb0E19rocblas_complex_numIdES1_PKPKS1_PKPS1_EviiT4_lT5_lllSA_lllT6_lmli,"axG",@progbits,_ZL18rocblas_ger_kernelILi32ELi32ELi2ELb0E19rocblas_complex_numIdES1_PKPKS1_PKPS1_EviiT4_lT5_lllSA_lllT6_lmli,comdat
.Lfunc_end61:
	.size	_ZL18rocblas_ger_kernelILi32ELi32ELi2ELb0E19rocblas_complex_numIdES1_PKPKS1_PKPS1_EviiT4_lT5_lllSA_lllT6_lmli, .Lfunc_end61-_ZL18rocblas_ger_kernelILi32ELi32ELi2ELb0E19rocblas_complex_numIdES1_PKPKS1_PKPS1_EviiT4_lT5_lllSA_lllT6_lmli
                                        ; -- End function
	.set _ZL18rocblas_ger_kernelILi32ELi32ELi2ELb0E19rocblas_complex_numIdES1_PKPKS1_PKPS1_EviiT4_lT5_lllSA_lllT6_lmli.num_vgpr, 32
	.set _ZL18rocblas_ger_kernelILi32ELi32ELi2ELb0E19rocblas_complex_numIdES1_PKPKS1_PKPS1_EviiT4_lT5_lllSA_lllT6_lmli.num_agpr, 0
	.set _ZL18rocblas_ger_kernelILi32ELi32ELi2ELb0E19rocblas_complex_numIdES1_PKPKS1_PKPS1_EviiT4_lT5_lllSA_lllT6_lmli.numbered_sgpr, 36
	.set _ZL18rocblas_ger_kernelILi32ELi32ELi2ELb0E19rocblas_complex_numIdES1_PKPKS1_PKPS1_EviiT4_lT5_lllSA_lllT6_lmli.num_named_barrier, 0
	.set _ZL18rocblas_ger_kernelILi32ELi32ELi2ELb0E19rocblas_complex_numIdES1_PKPKS1_PKPS1_EviiT4_lT5_lllSA_lllT6_lmli.private_seg_size, 0
	.set _ZL18rocblas_ger_kernelILi32ELi32ELi2ELb0E19rocblas_complex_numIdES1_PKPKS1_PKPS1_EviiT4_lT5_lllSA_lllT6_lmli.uses_vcc, 1
	.set _ZL18rocblas_ger_kernelILi32ELi32ELi2ELb0E19rocblas_complex_numIdES1_PKPKS1_PKPS1_EviiT4_lT5_lllSA_lllT6_lmli.uses_flat_scratch, 0
	.set _ZL18rocblas_ger_kernelILi32ELi32ELi2ELb0E19rocblas_complex_numIdES1_PKPKS1_PKPS1_EviiT4_lT5_lllSA_lllT6_lmli.has_dyn_sized_stack, 0
	.set _ZL18rocblas_ger_kernelILi32ELi32ELi2ELb0E19rocblas_complex_numIdES1_PKPKS1_PKPS1_EviiT4_lT5_lllSA_lllT6_lmli.has_recursion, 0
	.set _ZL18rocblas_ger_kernelILi32ELi32ELi2ELb0E19rocblas_complex_numIdES1_PKPKS1_PKPS1_EviiT4_lT5_lllSA_lllT6_lmli.has_indirect_call, 0
	.section	.AMDGPU.csdata,"",@progbits
; Kernel info:
; codeLenInByte = 1044
; TotalNumSgprs: 38
; NumVgprs: 32
; ScratchSize: 0
; MemoryBound: 1
; FloatMode: 240
; IeeeMode: 1
; LDSByteSize: 1536 bytes/workgroup (compile time only)
; SGPRBlocks: 0
; VGPRBlocks: 1
; NumSGPRsForWavesPerEU: 38
; NumVGPRsForWavesPerEU: 32
; NamedBarCnt: 0
; Occupancy: 16
; WaveLimiterHint : 1
; COMPUTE_PGM_RSRC2:SCRATCH_EN: 0
; COMPUTE_PGM_RSRC2:USER_SGPR: 2
; COMPUTE_PGM_RSRC2:TRAP_HANDLER: 0
; COMPUTE_PGM_RSRC2:TGID_X_EN: 1
; COMPUTE_PGM_RSRC2:TGID_Y_EN: 0
; COMPUTE_PGM_RSRC2:TGID_Z_EN: 1
; COMPUTE_PGM_RSRC2:TIDIG_COMP_CNT: 1
	.section	.text._ZL34rocblas_ger_double_buffered_kernelILb1ELi64ELi16ELi2E19rocblas_complex_numIfE24rocblas_internal_val_ptrIS1_EPKPKS1_PKPS1_EvbiiT4_lT5_lllSC_lllT6_lmli,"axG",@progbits,_ZL34rocblas_ger_double_buffered_kernelILb1ELi64ELi16ELi2E19rocblas_complex_numIfE24rocblas_internal_val_ptrIS1_EPKPKS1_PKPS1_EvbiiT4_lT5_lllSC_lllT6_lmli,comdat
	.globl	_ZL34rocblas_ger_double_buffered_kernelILb1ELi64ELi16ELi2E19rocblas_complex_numIfE24rocblas_internal_val_ptrIS1_EPKPKS1_PKPS1_EvbiiT4_lT5_lllSC_lllT6_lmli ; -- Begin function _ZL34rocblas_ger_double_buffered_kernelILb1ELi64ELi16ELi2E19rocblas_complex_numIfE24rocblas_internal_val_ptrIS1_EPKPKS1_PKPS1_EvbiiT4_lT5_lllSC_lllT6_lmli
	.p2align	8
	.type	_ZL34rocblas_ger_double_buffered_kernelILb1ELi64ELi16ELi2E19rocblas_complex_numIfE24rocblas_internal_val_ptrIS1_EPKPKS1_PKPS1_EvbiiT4_lT5_lllSC_lllT6_lmli,@function
_ZL34rocblas_ger_double_buffered_kernelILb1ELi64ELi16ELi2E19rocblas_complex_numIfE24rocblas_internal_val_ptrIS1_EPKPKS1_PKPS1_EvbiiT4_lT5_lllSC_lllT6_lmli: ; @_ZL34rocblas_ger_double_buffered_kernelILb1ELi64ELi16ELi2E19rocblas_complex_numIfE24rocblas_internal_val_ptrIS1_EPKPKS1_PKPS1_EvbiiT4_lT5_lllSC_lllT6_lmli
; %bb.0:
	s_load_b32 s30, s[0:1], 0x80
	s_bfe_u32 s2, ttmp6, 0x40014
	s_lshr_b32 s3, ttmp7, 16
	s_add_co_i32 s2, s2, 1
	s_bfe_u32 s4, ttmp6, 0x40008
	s_mul_i32 s2, s3, s2
	s_getreg_b32 s24, hwreg(HW_REG_IB_STS2, 6, 4)
	s_add_co_i32 s4, s4, s2
	s_cmp_eq_u32 s24, 0
	s_cselect_b32 s2, s3, s4
	s_mov_b32 s3, 0
	s_wait_kmcnt 0x0
	s_cmp_ge_u32 s2, s30
	s_cbranch_scc1 .LBB62_7
; %bb.1:
	v_lshrrev_b32_e32 v1, 4, v0
	s_load_b128 s[4:7], s[0:1], 0x68
	v_and_b32_e32 v2, 0x3ff, v0
	s_clause 0x3
	s_load_b128 s[16:19], s[0:1], 0x48
	s_load_b128 s[12:15], s[0:1], 0x28
	s_load_b32 s25, s[0:1], 0x0
	s_load_b128 s[8:11], s[0:1], 0x10
	v_and_b32_e32 v1, 0xffc0, v1
	s_clause 0x1
	s_load_b64 s[20:21], s[0:1], 0x60
	s_load_b64 s[22:23], s[0:1], 0x20
	s_delay_alu instid0(VALU_DEP_1) | instskip(NEXT) | instid1(VALU_DEP_1)
	v_dual_mov_b32 v1, 0 :: v_dual_add_nc_u32 v2, v1, v2
	v_dual_lshrrev_b32 v6, 4, v2 :: v_dual_bitop2_b32 v12, 31, v0 bitop3:0x40
	s_delay_alu instid0(VALU_DEP_1) | instskip(SKIP_1) | instid1(VALU_DEP_3)
	v_dual_mov_b32 v13, v1 :: v_dual_bitop2_b32 v8, 32, v12 bitop3:0x54
	v_mov_b32_e32 v9, v1
	v_and_b32_e32 v0, 0x1ffe, v6
	s_wait_kmcnt 0x0
	s_delay_alu instid0(VALU_DEP_2) | instskip(SKIP_1) | instid1(VALU_DEP_2)
	v_mul_u64_e32 v[8:9], s[14:15], v[8:9]
	s_bitcmp1_b32 s25, 0
	v_mul_u64_e32 v[2:3], s[6:7], v[0:1]
	v_mul_u64_e32 v[4:5], s[18:19], v[0:1]
	v_or_b32_e32 v0, 1, v6
	v_mul_u64_e32 v[6:7], s[14:15], v[12:13]
	s_cselect_b32 s25, -1, 0
	s_bfe_u32 s26, ttmp6, 0x4000c
	s_bfe_u32 s28, ttmp6, 0x40010
	v_mul_u64_e32 v[10:11], s[18:19], v[0:1]
	s_add_co_i32 s26, s26, 1
	s_and_b32 s29, ttmp7, 0xffff
	s_add_co_i32 s28, s28, 1
	s_xor_b32 s27, s25, -1
	s_and_b32 s25, ttmp6, 15
	s_mul_i32 s26, ttmp9, s26
	s_mul_i32 s28, s29, s28
	s_bfe_u32 s31, ttmp6, 0x40004
	s_add_co_i32 s26, s25, s26
	s_add_co_i32 s31, s31, s28
	s_cmp_eq_u32 s24, 0
	s_load_b64 s[24:25], s[0:1], 0x40
	s_wait_xcnt 0x0
	s_cselect_b32 s0, ttmp9, s26
	v_cndmask_b32_e64 v0, 0, 1, s27
	s_cselect_b32 s1, s29, s31
	s_lshl_b32 s26, s0, 6
	s_lshl_b32 s0, s1, 6
	s_mov_b32 s1, s3
	s_ashr_i32 s27, s26, 31
	s_mul_u64 s[28:29], s[6:7], s[0:1]
	s_mul_u64 s[36:37], s[18:19], s[0:1]
	v_cmp_ne_u32_e64 s0, 1, v0
	v_lshlrev_b32_e32 v0, 3, v12
	s_mul_u64 s[34:35], s[14:15], s[26:27]
	s_lshl_b64 s[4:5], s[4:5], 3
	s_lshl_b64 s[14:15], s[16:17], 3
	;; [unrolled: 1-line block ×7, first 2 shown]
	s_branch .LBB62_3
.LBB62_2:                               ;   in Loop: Header=BB62_3 Depth=1
	s_add_co_i32 s2, s2, 0x10000
	s_delay_alu instid0(SALU_CYCLE_1)
	s_cmp_lt_u32 s2, s30
	s_cbranch_scc0 .LBB62_7
.LBB62_3:                               ; =>This Inner Loop Header: Depth=1
	s_wait_xcnt 0x1
	v_mov_b64_e32 v[12:13], s[8:9]
	s_and_b32 vcc_lo, exec_lo, s0
	s_cbranch_vccnz .LBB62_5
; %bb.4:                                ;   in Loop: Header=BB62_3 Depth=1
	s_wait_xcnt 0x0
	s_mul_u64 s[34:35], s[10:11], s[2:3]
	s_delay_alu instid0(SALU_CYCLE_1) | instskip(NEXT) | instid1(SALU_CYCLE_1)
	s_lshl_b64 s[34:35], s[34:35], 3
	s_add_nc_u64 s[34:35], s[8:9], s[34:35]
	global_load_b64 v[12:13], v1, s[34:35]
.LBB62_5:                               ;   in Loop: Header=BB62_3 Depth=1
	s_wait_loadcnt 0x0
	s_delay_alu instid0(VALU_DEP_1) | instskip(NEXT) | instid1(VALU_DEP_2)
	v_cmp_neq_f32_e32 vcc_lo, 0, v13
	v_cmp_neq_f32_e64 s1, 0, v12
	s_or_b32 s1, s1, vcc_lo
	s_delay_alu instid0(SALU_CYCLE_1)
	s_and_not1_b32 vcc_lo, exec_lo, s1
	s_cbranch_vccnz .LBB62_2
; %bb.6:                                ;   in Loop: Header=BB62_3 Depth=1
	s_wait_xcnt 0x0
	s_lshl_b64 s[34:35], s[2:3], 3
	s_delay_alu instid0(SALU_CYCLE_1)
	s_add_nc_u64 s[36:37], s[22:23], s[34:35]
	s_wait_kmcnt 0x0
	s_add_nc_u64 s[38:39], s[24:25], s[34:35]
	s_load_b64 s[36:37], s[36:37], 0x0
	s_add_nc_u64 s[34:35], s[20:21], s[34:35]
	s_load_b64 s[38:39], s[38:39], 0x0
	s_wait_kmcnt 0x0
	s_wait_xcnt 0x0
	s_add_nc_u64 s[36:37], s[36:37], s[12:13]
	s_load_b64 s[34:35], s[34:35], 0x0
	s_add_nc_u64 s[36:37], s[36:37], s[26:27]
	s_delay_alu instid0(SALU_CYCLE_1) | instskip(SKIP_2) | instid1(SALU_CYCLE_1)
	v_lshl_add_u64 v[14:15], v[6:7], 3, s[36:37]
	v_lshl_add_u64 v[16:17], v[8:9], 3, s[36:37]
	s_add_nc_u64 s[36:37], s[38:39], s[14:15]
	s_add_nc_u64 s[36:37], s[36:37], s[28:29]
	s_clause 0x1
	flat_load_b64 v[14:15], v[14:15]
	flat_load_b64 v[16:17], v[16:17]
	v_lshl_add_u64 v[18:19], v[10:11], 3, s[36:37]
	v_lshl_add_u64 v[20:21], v[4:5], 3, s[36:37]
	s_clause 0x1
	flat_load_b64 v[18:19], v[18:19]
	flat_load_b64 v[20:21], v[20:21]
	s_wait_kmcnt 0x0
	s_add_nc_u64 s[34:35], s[34:35], s[4:5]
	s_delay_alu instid0(SALU_CYCLE_1) | instskip(NEXT) | instid1(SALU_CYCLE_1)
	s_add_nc_u64 s[34:35], s[34:35], s[16:17]
	s_add_nc_u64 s[34:35], s[34:35], s[18:19]
	s_delay_alu instid0(SALU_CYCLE_1) | instskip(NEXT) | instid1(VALU_DEP_1)
	v_lshl_add_u64 v[22:23], v[2:3], 3, s[34:35]
	v_add_nc_u64_e32 v[22:23], v[22:23], v[0:1]
	s_delay_alu instid0(VALU_DEP_1)
	v_lshl_add_u64 v[24:25], s[6:7], 3, v[22:23]
	s_clause 0x3
	flat_load_b64 v[26:27], v[22:23]
	flat_load_b64 v[28:29], v[24:25]
	flat_load_b64 v[30:31], v[24:25] offset:256
	flat_load_b64 v[32:33], v[22:23] offset:256
	s_wait_loadcnt_dscnt 0x606
	v_dual_mul_f32 v34, v12, v15 :: v_dual_mul_f32 v36, v12, v17
	s_wait_xcnt 0x6
	v_dual_mul_f32 v15, v13, v15 :: v_dual_mul_f32 v17, v13, v17
	s_delay_alu instid0(VALU_DEP_2) | instskip(NEXT) | instid1(VALU_DEP_2)
	v_dual_fmac_f32 v34, v13, v14 :: v_dual_fmac_f32 v36, v13, v16
	v_dual_fma_f32 v14, v12, v14, -v15 :: v_dual_fma_f32 v12, v12, v16, -v17
	s_wait_loadcnt_dscnt 0x505
	s_delay_alu instid0(VALU_DEP_2)
	v_pk_mul_f32 v[38:39], v[34:35], v[18:19] op_sel_hi:[0,1]
	s_wait_loadcnt_dscnt 0x404
	v_pk_mul_f32 v[16:17], v[34:35], v[20:21] op_sel_hi:[0,1]
	v_pk_mul_f32 v[34:35], v[36:37], v[18:19] op_sel_hi:[0,1]
	;; [unrolled: 1-line block ×3, first 2 shown]
	v_pk_fma_f32 v[40:41], v[14:15], v[18:19], v[38:39] op_sel:[0,0,1] op_sel_hi:[1,1,0]
	v_pk_fma_f32 v[38:39], v[14:15], v[18:19], v[38:39] op_sel:[0,0,1] op_sel_hi:[0,1,0] neg_lo:[1,0,0] neg_hi:[1,0,0]
	v_pk_fma_f32 v[42:43], v[14:15], v[20:21], v[16:17] op_sel:[0,0,1] op_sel_hi:[1,1,0]
	v_pk_fma_f32 v[14:15], v[14:15], v[20:21], v[16:17] op_sel:[0,0,1] op_sel_hi:[0,1,0] neg_lo:[1,0,0] neg_hi:[1,0,0]
	v_pk_fma_f32 v[44:45], v[12:13], v[20:21], v[36:37] op_sel:[0,0,1] op_sel_hi:[0,1,0] neg_lo:[1,0,0] neg_hi:[1,0,0]
	v_pk_fma_f32 v[16:17], v[12:13], v[18:19], v[34:35] op_sel:[0,0,1] op_sel_hi:[1,1,0]
	s_wait_xcnt 0x5
	v_pk_fma_f32 v[18:19], v[12:13], v[18:19], v[34:35] op_sel:[0,0,1] op_sel_hi:[0,1,0] neg_lo:[1,0,0] neg_hi:[1,0,0]
	v_pk_fma_f32 v[12:13], v[12:13], v[20:21], v[36:37] op_sel:[0,0,1] op_sel_hi:[1,1,0]
	v_dual_mov_b32 v43, v15 :: v_dual_mov_b32 v41, v39
	s_delay_alu instid0(VALU_DEP_3) | instskip(SKIP_1) | instid1(VALU_DEP_2)
	v_dual_mov_b32 v13, v45 :: v_dual_mov_b32 v17, v19
	s_wait_loadcnt_dscnt 0x303
	v_pk_add_f32 v[14:15], v[26:27], v[42:43]
	s_wait_loadcnt_dscnt 0x202
	v_pk_add_f32 v[18:19], v[28:29], v[40:41]
	;; [unrolled: 2-line block ×4, first 2 shown]
	s_clause 0x3
	flat_store_b64 v[22:23], v[14:15]
	flat_store_b64 v[24:25], v[18:19]
	flat_store_b64 v[22:23], v[12:13] offset:256
	flat_store_b64 v[24:25], v[16:17] offset:256
	s_branch .LBB62_2
.LBB62_7:
	s_endpgm
	.section	.rodata,"a",@progbits
	.p2align	6, 0x0
	.amdhsa_kernel _ZL34rocblas_ger_double_buffered_kernelILb1ELi64ELi16ELi2E19rocblas_complex_numIfE24rocblas_internal_val_ptrIS1_EPKPKS1_PKPS1_EvbiiT4_lT5_lllSC_lllT6_lmli
		.amdhsa_group_segment_fixed_size 0
		.amdhsa_private_segment_fixed_size 0
		.amdhsa_kernarg_size 132
		.amdhsa_user_sgpr_count 2
		.amdhsa_user_sgpr_dispatch_ptr 0
		.amdhsa_user_sgpr_queue_ptr 0
		.amdhsa_user_sgpr_kernarg_segment_ptr 1
		.amdhsa_user_sgpr_dispatch_id 0
		.amdhsa_user_sgpr_kernarg_preload_length 0
		.amdhsa_user_sgpr_kernarg_preload_offset 0
		.amdhsa_user_sgpr_private_segment_size 0
		.amdhsa_wavefront_size32 1
		.amdhsa_uses_dynamic_stack 0
		.amdhsa_enable_private_segment 0
		.amdhsa_system_sgpr_workgroup_id_x 1
		.amdhsa_system_sgpr_workgroup_id_y 1
		.amdhsa_system_sgpr_workgroup_id_z 1
		.amdhsa_system_sgpr_workgroup_info 0
		.amdhsa_system_vgpr_workitem_id 1
		.amdhsa_next_free_vgpr 46
		.amdhsa_next_free_sgpr 40
		.amdhsa_named_barrier_count 0
		.amdhsa_reserve_vcc 1
		.amdhsa_float_round_mode_32 0
		.amdhsa_float_round_mode_16_64 0
		.amdhsa_float_denorm_mode_32 3
		.amdhsa_float_denorm_mode_16_64 3
		.amdhsa_fp16_overflow 0
		.amdhsa_memory_ordered 1
		.amdhsa_forward_progress 1
		.amdhsa_inst_pref_size 9
		.amdhsa_round_robin_scheduling 0
		.amdhsa_exception_fp_ieee_invalid_op 0
		.amdhsa_exception_fp_denorm_src 0
		.amdhsa_exception_fp_ieee_div_zero 0
		.amdhsa_exception_fp_ieee_overflow 0
		.amdhsa_exception_fp_ieee_underflow 0
		.amdhsa_exception_fp_ieee_inexact 0
		.amdhsa_exception_int_div_zero 0
	.end_amdhsa_kernel
	.section	.text._ZL34rocblas_ger_double_buffered_kernelILb1ELi64ELi16ELi2E19rocblas_complex_numIfE24rocblas_internal_val_ptrIS1_EPKPKS1_PKPS1_EvbiiT4_lT5_lllSC_lllT6_lmli,"axG",@progbits,_ZL34rocblas_ger_double_buffered_kernelILb1ELi64ELi16ELi2E19rocblas_complex_numIfE24rocblas_internal_val_ptrIS1_EPKPKS1_PKPS1_EvbiiT4_lT5_lllSC_lllT6_lmli,comdat
.Lfunc_end62:
	.size	_ZL34rocblas_ger_double_buffered_kernelILb1ELi64ELi16ELi2E19rocblas_complex_numIfE24rocblas_internal_val_ptrIS1_EPKPKS1_PKPS1_EvbiiT4_lT5_lllSC_lllT6_lmli, .Lfunc_end62-_ZL34rocblas_ger_double_buffered_kernelILb1ELi64ELi16ELi2E19rocblas_complex_numIfE24rocblas_internal_val_ptrIS1_EPKPKS1_PKPS1_EvbiiT4_lT5_lllSC_lllT6_lmli
                                        ; -- End function
	.set _ZL34rocblas_ger_double_buffered_kernelILb1ELi64ELi16ELi2E19rocblas_complex_numIfE24rocblas_internal_val_ptrIS1_EPKPKS1_PKPS1_EvbiiT4_lT5_lllSC_lllT6_lmli.num_vgpr, 46
	.set _ZL34rocblas_ger_double_buffered_kernelILb1ELi64ELi16ELi2E19rocblas_complex_numIfE24rocblas_internal_val_ptrIS1_EPKPKS1_PKPS1_EvbiiT4_lT5_lllSC_lllT6_lmli.num_agpr, 0
	.set _ZL34rocblas_ger_double_buffered_kernelILb1ELi64ELi16ELi2E19rocblas_complex_numIfE24rocblas_internal_val_ptrIS1_EPKPKS1_PKPS1_EvbiiT4_lT5_lllSC_lllT6_lmli.numbered_sgpr, 40
	.set _ZL34rocblas_ger_double_buffered_kernelILb1ELi64ELi16ELi2E19rocblas_complex_numIfE24rocblas_internal_val_ptrIS1_EPKPKS1_PKPS1_EvbiiT4_lT5_lllSC_lllT6_lmli.num_named_barrier, 0
	.set _ZL34rocblas_ger_double_buffered_kernelILb1ELi64ELi16ELi2E19rocblas_complex_numIfE24rocblas_internal_val_ptrIS1_EPKPKS1_PKPS1_EvbiiT4_lT5_lllSC_lllT6_lmli.private_seg_size, 0
	.set _ZL34rocblas_ger_double_buffered_kernelILb1ELi64ELi16ELi2E19rocblas_complex_numIfE24rocblas_internal_val_ptrIS1_EPKPKS1_PKPS1_EvbiiT4_lT5_lllSC_lllT6_lmli.uses_vcc, 1
	.set _ZL34rocblas_ger_double_buffered_kernelILb1ELi64ELi16ELi2E19rocblas_complex_numIfE24rocblas_internal_val_ptrIS1_EPKPKS1_PKPS1_EvbiiT4_lT5_lllSC_lllT6_lmli.uses_flat_scratch, 1
	.set _ZL34rocblas_ger_double_buffered_kernelILb1ELi64ELi16ELi2E19rocblas_complex_numIfE24rocblas_internal_val_ptrIS1_EPKPKS1_PKPS1_EvbiiT4_lT5_lllSC_lllT6_lmli.has_dyn_sized_stack, 0
	.set _ZL34rocblas_ger_double_buffered_kernelILb1ELi64ELi16ELi2E19rocblas_complex_numIfE24rocblas_internal_val_ptrIS1_EPKPKS1_PKPS1_EvbiiT4_lT5_lllSC_lllT6_lmli.has_recursion, 0
	.set _ZL34rocblas_ger_double_buffered_kernelILb1ELi64ELi16ELi2E19rocblas_complex_numIfE24rocblas_internal_val_ptrIS1_EPKPKS1_PKPS1_EvbiiT4_lT5_lllSC_lllT6_lmli.has_indirect_call, 0
	.section	.AMDGPU.csdata,"",@progbits
; Kernel info:
; codeLenInByte = 1092
; TotalNumSgprs: 42
; NumVgprs: 46
; ScratchSize: 0
; MemoryBound: 0
; FloatMode: 240
; IeeeMode: 1
; LDSByteSize: 0 bytes/workgroup (compile time only)
; SGPRBlocks: 0
; VGPRBlocks: 2
; NumSGPRsForWavesPerEU: 42
; NumVGPRsForWavesPerEU: 46
; NamedBarCnt: 0
; Occupancy: 16
; WaveLimiterHint : 1
; COMPUTE_PGM_RSRC2:SCRATCH_EN: 0
; COMPUTE_PGM_RSRC2:USER_SGPR: 2
; COMPUTE_PGM_RSRC2:TRAP_HANDLER: 0
; COMPUTE_PGM_RSRC2:TGID_X_EN: 1
; COMPUTE_PGM_RSRC2:TGID_Y_EN: 1
; COMPUTE_PGM_RSRC2:TGID_Z_EN: 1
; COMPUTE_PGM_RSRC2:TIDIG_COMP_CNT: 1
	.section	.text._ZL18rocblas_ger_kernelILi32ELi32ELi2ELb1E19rocblas_complex_numIfEPKS1_PKS3_PKPS1_EviiT4_lT5_lllSA_lllT6_lmli,"axG",@progbits,_ZL18rocblas_ger_kernelILi32ELi32ELi2ELb1E19rocblas_complex_numIfEPKS1_PKS3_PKPS1_EviiT4_lT5_lllSA_lllT6_lmli,comdat
	.globl	_ZL18rocblas_ger_kernelILi32ELi32ELi2ELb1E19rocblas_complex_numIfEPKS1_PKS3_PKPS1_EviiT4_lT5_lllSA_lllT6_lmli ; -- Begin function _ZL18rocblas_ger_kernelILi32ELi32ELi2ELb1E19rocblas_complex_numIfEPKS1_PKS3_PKPS1_EviiT4_lT5_lllSA_lllT6_lmli
	.p2align	8
	.type	_ZL18rocblas_ger_kernelILi32ELi32ELi2ELb1E19rocblas_complex_numIfEPKS1_PKS3_PKPS1_EviiT4_lT5_lllSA_lllT6_lmli,@function
_ZL18rocblas_ger_kernelILi32ELi32ELi2ELb1E19rocblas_complex_numIfEPKS1_PKS3_PKPS1_EviiT4_lT5_lllSA_lllT6_lmli: ; @_ZL18rocblas_ger_kernelILi32ELi32ELi2ELb1E19rocblas_complex_numIfEPKS1_PKS3_PKPS1_EviiT4_lT5_lllSA_lllT6_lmli
; %bb.0:
	s_load_b32 s30, s[0:1], 0x78
	s_bfe_u32 s2, ttmp6, 0x40014
	s_lshr_b32 s3, ttmp7, 16
	s_add_co_i32 s2, s2, 1
	s_bfe_u32 s5, ttmp6, 0x40008
	s_mul_i32 s4, s3, s2
	s_getreg_b32 s2, hwreg(HW_REG_IB_STS2, 6, 4)
	s_add_co_i32 s5, s5, s4
	s_cmp_eq_u32 s2, 0
	s_mov_b32 s7, 0
	s_cselect_b32 s6, s3, s5
	s_wait_kmcnt 0x0
	s_cmp_ge_u32 s6, s30
	s_cbranch_scc1 .LBB63_18
; %bb.1:
	s_clause 0x1
	s_load_b64 s[4:5], s[0:1], 0x0
	s_load_b128 s[8:11], s[0:1], 0x8
	s_bfe_u32 s14, ttmp6, 0x4000c
	s_and_b32 s13, ttmp6, 15
	s_add_co_i32 s14, s14, 1
	v_bfe_u32 v16, v0, 10, 10
	s_mul_i32 s14, ttmp9, s14
	s_load_b128 s[20:23], s[0:1], 0x60
	s_add_co_i32 s16, s13, s14
	v_and_b32_e32 v18, 0x3ff, v0
	v_mov_b32_e32 v3, 0
	s_wait_kmcnt 0x0
	s_add_co_i32 s3, s4, -1
	s_delay_alu instid0(SALU_CYCLE_1) | instskip(NEXT) | instid1(SALU_CYCLE_1)
	s_ashr_i32 s12, s3, 31
	s_lshr_b32 s12, s12, 27
	s_delay_alu instid0(SALU_CYCLE_1) | instskip(NEXT) | instid1(SALU_CYCLE_1)
	s_add_co_i32 s3, s3, s12
	s_ashr_i32 s3, s3, 5
	s_delay_alu instid0(SALU_CYCLE_1) | instskip(SKIP_2) | instid1(SALU_CYCLE_3)
	s_add_co_i32 s24, s3, 1
	s_not_b32 s3, s3
	s_cvt_f32_u32 s12, s24
	v_rcp_iflag_f32_e32 v1, s12
	v_nop
	s_delay_alu instid0(TRANS32_DEP_1) | instskip(SKIP_2) | instid1(SALU_CYCLE_3)
	v_readfirstlane_b32 s12, v1
	v_lshlrev_b32_e32 v1, 1, v16
	s_mul_f32 s12, s12, 0x4f7ffffe
	s_cvt_u32_f32 s12, s12
	s_delay_alu instid0(SALU_CYCLE_3) | instskip(NEXT) | instid1(SALU_CYCLE_1)
	s_mul_i32 s3, s3, s12
	s_mul_hi_u32 s3, s12, s3
	s_delay_alu instid0(SALU_CYCLE_1)
	s_add_co_i32 s3, s12, s3
	s_cmp_eq_u32 s2, 0
	s_load_b128 s[12:15], s[0:1], 0x20
	s_cselect_b32 s2, ttmp9, s16
	s_load_b128 s[16:19], s[0:1], 0x40
	s_mul_hi_u32 s3, s2, s3
	s_delay_alu instid0(SALU_CYCLE_1) | instskip(SKIP_2) | instid1(SALU_CYCLE_1)
	s_mul_i32 s25, s3, s24
	s_add_co_i32 s26, s3, 1
	s_sub_co_i32 s25, s2, s25
	s_sub_co_i32 s27, s25, s24
	s_cmp_ge_u32 s25, s24
	s_cselect_b32 s3, s26, s3
	s_cselect_b32 s25, s27, s25
	s_add_co_i32 s26, s3, 1
	s_cmp_ge_u32 s25, s24
	s_cselect_b32 s3, s26, s3
	s_lshl_b64 s[20:21], s[20:21], 3
	v_lshl_add_u32 v12, s3, 6, v1
	s_mul_i32 s24, s3, s24
	s_wait_kmcnt 0x0
	s_lshl_b64 s[12:13], s[12:13], 3
	s_sub_co_i32 s2, s2, s24
	s_lshl_b64 s[16:17], s[16:17], 3
	v_lshl_add_u32 v0, s2, 5, v18
	v_dual_ashrrev_i32 v13, 31, v12 :: v_dual_bitop2_b32 v14, 1, v12 bitop3:0x54
	v_or_b32_e32 v2, v12, v18
	v_cmp_gt_u32_e64 s2, 2, v18
	s_delay_alu instid0(VALU_DEP_3) | instskip(NEXT) | instid1(VALU_DEP_4)
	v_dual_ashrrev_i32 v1, 31, v0 :: v_dual_ashrrev_i32 v15, 31, v14
	v_mul_u64_e32 v[8:9], s[22:23], v[12:13]
	s_delay_alu instid0(VALU_DEP_4) | instskip(SKIP_1) | instid1(VALU_DEP_4)
	v_mul_u64_e32 v[4:5], s[18:19], v[2:3]
	v_lshlrev_b32_e32 v13, 3, v18
	v_mul_u64_e32 v[6:7], s[14:15], v[0:1]
	v_mul_u64_e32 v[10:11], s[22:23], v[14:15]
	s_clause 0x2
	s_load_b64 s[14:15], s[0:1], 0x58
	s_load_b64 s[18:19], s[0:1], 0x18
	;; [unrolled: 1-line block ×3, first 2 shown]
	s_wait_xcnt 0x0
	v_cmp_eq_u32_e64 s0, 0, v16
	v_lshlrev_b32_e32 v16, 4, v16
	v_cmp_gt_i32_e64 s1, s4, v0
	v_add_nc_u32_e32 v17, 0x200, v13
	v_cmp_gt_u32_e64 s3, s5, v2
	v_cmp_gt_i32_e64 s4, s5, v12
	v_add_nc_u32_e32 v18, v16, v13
	v_cmp_gt_i32_e64 s5, s5, v14
	s_branch .LBB63_4
.LBB63_2:                               ;   in Loop: Header=BB63_4 Depth=1
	s_wait_xcnt 0x0
	s_or_b32 exec_lo, exec_lo, s26
.LBB63_3:                               ;   in Loop: Header=BB63_4 Depth=1
	s_add_co_i32 s6, s6, 0x10000
	s_delay_alu instid0(SALU_CYCLE_1)
	s_cmp_lt_u32 s6, s30
	s_cbranch_scc0 .LBB63_18
.LBB63_4:                               ; =>This Inner Loop Header: Depth=1
	s_wait_xcnt 0x0
	s_mul_u64 s[24:25], s[10:11], s[6:7]
	s_delay_alu instid0(SALU_CYCLE_1) | instskip(NEXT) | instid1(SALU_CYCLE_1)
	s_lshl_b64 s[24:25], s[24:25], 3
	s_add_nc_u64 s[24:25], s[8:9], s[24:25]
	global_load_b64 v[12:13], v3, s[24:25]
	s_wait_loadcnt 0x0
	v_or_b32_e32 v2, v12, v13
	s_delay_alu instid0(VALU_DEP_1) | instskip(NEXT) | instid1(VALU_DEP_1)
	v_and_b32_e32 v2, 0x7fffffff, v2
	v_cmp_eq_u32_e32 vcc_lo, 0, v2
	s_cbranch_vccnz .LBB63_3
; %bb.5:                                ;   in Loop: Header=BB63_4 Depth=1
	s_lshl_b64 s[28:29], s[6:7], 3
	s_wait_kmcnt 0x0
	s_add_nc_u64 s[34:35], s[22:23], s[28:29]
	s_add_nc_u64 s[36:37], s[14:15], s[28:29]
	s_load_b64 s[26:27], s[34:35], 0x0
	s_load_b64 s[24:25], s[36:37], 0x0
	s_and_saveexec_b32 s31, s0
	s_cbranch_execz .LBB63_9
; %bb.6:                                ;   in Loop: Header=BB63_4 Depth=1
	v_dual_mov_b32 v14, 0 :: v_dual_mov_b32 v15, 0
	s_and_saveexec_b32 s33, s1
	s_cbranch_execz .LBB63_8
; %bb.7:                                ;   in Loop: Header=BB63_4 Depth=1
	s_add_nc_u64 s[28:29], s[18:19], s[28:29]
	s_load_b64 s[28:29], s[28:29], 0x0
	s_wait_kmcnt 0x0
	s_wait_xcnt 0x0
	s_add_nc_u64 s[28:29], s[28:29], s[12:13]
	s_delay_alu instid0(SALU_CYCLE_1)
	v_lshl_add_u64 v[14:15], v[6:7], 3, s[28:29]
	flat_load_b64 v[14:15], v[14:15]
.LBB63_8:                               ;   in Loop: Header=BB63_4 Depth=1
	s_wait_xcnt 0x0
	s_or_b32 exec_lo, exec_lo, s33
	s_wait_loadcnt_dscnt 0x0
	ds_store_b64 v17, v[14:15]
.LBB63_9:                               ;   in Loop: Header=BB63_4 Depth=1
	s_or_b32 exec_lo, exec_lo, s31
	s_and_saveexec_b32 s28, s2
	s_cbranch_execz .LBB63_13
; %bb.10:                               ;   in Loop: Header=BB63_4 Depth=1
	v_dual_mov_b32 v14, 0 :: v_dual_mov_b32 v15, 0
	s_and_saveexec_b32 s29, s3
	s_cbranch_execz .LBB63_12
; %bb.11:                               ;   in Loop: Header=BB63_4 Depth=1
	s_wait_kmcnt 0x0
	s_add_nc_u64 s[26:27], s[26:27], s[16:17]
	s_delay_alu instid0(SALU_CYCLE_1)
	v_lshl_add_u64 v[14:15], v[4:5], 3, s[26:27]
	flat_load_b64 v[14:15], v[14:15]
.LBB63_12:                              ;   in Loop: Header=BB63_4 Depth=1
	s_wait_xcnt 0x0
	s_or_b32 exec_lo, exec_lo, s29
	s_wait_loadcnt_dscnt 0x0
	ds_store_b64 v18, v[14:15]
.LBB63_13:                              ;   in Loop: Header=BB63_4 Depth=1
	s_or_b32 exec_lo, exec_lo, s28
	s_wait_dscnt 0x0
	s_barrier_signal -1
	s_barrier_wait -1
	s_wait_kmcnt 0x0
	s_and_saveexec_b32 s26, s1
	s_cbranch_execz .LBB63_2
; %bb.14:                               ;   in Loop: Header=BB63_4 Depth=1
	ds_load_b64 v[14:15], v17
	s_add_nc_u64 s[24:25], s[24:25], s[20:21]
	s_wait_dscnt 0x0
	v_dual_mul_f32 v19, v15, v13 :: v_dual_mul_f32 v2, v15, v12
	s_delay_alu instid0(VALU_DEP_1)
	v_dual_fma_f32 v12, v14, v12, -v19 :: v_dual_fmac_f32 v2, v14, v13
	v_lshl_add_u64 v[14:15], v[0:1], 3, s[24:25]
	s_and_saveexec_b32 s24, s4
	s_cbranch_execz .LBB63_16
; %bb.15:                               ;   in Loop: Header=BB63_4 Depth=1
	s_delay_alu instid0(VALU_DEP_1) | instskip(SKIP_4) | instid1(VALU_DEP_1)
	v_lshl_add_u64 v[20:21], v[8:9], 3, v[14:15]
	ds_load_b64 v[24:25], v16
	flat_load_b64 v[22:23], v[20:21]
	s_wait_dscnt 0x1
	v_pk_mul_f32 v[26:27], v[12:13], v[24:25] op_sel_hi:[0,1]
	v_pk_fma_f32 v[28:29], v[2:3], v[24:25], v[26:27] op_sel:[0,1,0] op_sel_hi:[0,0,1] neg_lo:[0,0,1] neg_hi:[0,0,1]
	v_pk_fma_f32 v[24:25], v[2:3], v[24:25], v[26:27] op_sel:[0,1,0] op_sel_hi:[1,0,1]
	s_delay_alu instid0(VALU_DEP_2) | instskip(SKIP_1) | instid1(VALU_DEP_1)
	v_mov_b32_e32 v25, v29
	s_wait_loadcnt_dscnt 0x0
	v_pk_add_f32 v[22:23], v[22:23], v[24:25]
	flat_store_b64 v[20:21], v[22:23]
.LBB63_16:                              ;   in Loop: Header=BB63_4 Depth=1
	s_wait_xcnt 0x0
	s_or_b32 exec_lo, exec_lo, s24
	s_delay_alu instid0(SALU_CYCLE_1)
	s_and_b32 exec_lo, exec_lo, s5
	s_cbranch_execz .LBB63_2
; %bb.17:                               ;   in Loop: Header=BB63_4 Depth=1
	v_lshl_add_u64 v[14:15], v[10:11], 3, v[14:15]
	ds_load_b64 v[22:23], v16 offset:8
	flat_load_b64 v[20:21], v[14:15]
	s_wait_dscnt 0x1
	v_pk_mul_f32 v[12:13], v[12:13], v[22:23] op_sel_hi:[0,1]
	s_delay_alu instid0(VALU_DEP_1) | instskip(SKIP_1) | instid1(VALU_DEP_2)
	v_pk_fma_f32 v[24:25], v[2:3], v[22:23], v[12:13] op_sel:[0,1,0] op_sel_hi:[0,0,1] neg_lo:[0,0,1] neg_hi:[0,0,1]
	v_pk_fma_f32 v[12:13], v[2:3], v[22:23], v[12:13] op_sel:[0,1,0] op_sel_hi:[1,0,1]
	v_mov_b32_e32 v13, v25
	s_wait_loadcnt_dscnt 0x0
	s_delay_alu instid0(VALU_DEP_1)
	v_pk_add_f32 v[12:13], v[20:21], v[12:13]
	flat_store_b64 v[14:15], v[12:13]
	s_branch .LBB63_2
.LBB63_18:
	s_endpgm
	.section	.rodata,"a",@progbits
	.p2align	6, 0x0
	.amdhsa_kernel _ZL18rocblas_ger_kernelILi32ELi32ELi2ELb1E19rocblas_complex_numIfEPKS1_PKS3_PKPS1_EviiT4_lT5_lllSA_lllT6_lmli
		.amdhsa_group_segment_fixed_size 768
		.amdhsa_private_segment_fixed_size 0
		.amdhsa_kernarg_size 124
		.amdhsa_user_sgpr_count 2
		.amdhsa_user_sgpr_dispatch_ptr 0
		.amdhsa_user_sgpr_queue_ptr 0
		.amdhsa_user_sgpr_kernarg_segment_ptr 1
		.amdhsa_user_sgpr_dispatch_id 0
		.amdhsa_user_sgpr_kernarg_preload_length 0
		.amdhsa_user_sgpr_kernarg_preload_offset 0
		.amdhsa_user_sgpr_private_segment_size 0
		.amdhsa_wavefront_size32 1
		.amdhsa_uses_dynamic_stack 0
		.amdhsa_enable_private_segment 0
		.amdhsa_system_sgpr_workgroup_id_x 1
		.amdhsa_system_sgpr_workgroup_id_y 0
		.amdhsa_system_sgpr_workgroup_id_z 1
		.amdhsa_system_sgpr_workgroup_info 0
		.amdhsa_system_vgpr_workitem_id 1
		.amdhsa_next_free_vgpr 30
		.amdhsa_next_free_sgpr 38
		.amdhsa_named_barrier_count 0
		.amdhsa_reserve_vcc 1
		.amdhsa_float_round_mode_32 0
		.amdhsa_float_round_mode_16_64 0
		.amdhsa_float_denorm_mode_32 3
		.amdhsa_float_denorm_mode_16_64 3
		.amdhsa_fp16_overflow 0
		.amdhsa_memory_ordered 1
		.amdhsa_forward_progress 1
		.amdhsa_inst_pref_size 9
		.amdhsa_round_robin_scheduling 0
		.amdhsa_exception_fp_ieee_invalid_op 0
		.amdhsa_exception_fp_denorm_src 0
		.amdhsa_exception_fp_ieee_div_zero 0
		.amdhsa_exception_fp_ieee_overflow 0
		.amdhsa_exception_fp_ieee_underflow 0
		.amdhsa_exception_fp_ieee_inexact 0
		.amdhsa_exception_int_div_zero 0
	.end_amdhsa_kernel
	.section	.text._ZL18rocblas_ger_kernelILi32ELi32ELi2ELb1E19rocblas_complex_numIfEPKS1_PKS3_PKPS1_EviiT4_lT5_lllSA_lllT6_lmli,"axG",@progbits,_ZL18rocblas_ger_kernelILi32ELi32ELi2ELb1E19rocblas_complex_numIfEPKS1_PKS3_PKPS1_EviiT4_lT5_lllSA_lllT6_lmli,comdat
.Lfunc_end63:
	.size	_ZL18rocblas_ger_kernelILi32ELi32ELi2ELb1E19rocblas_complex_numIfEPKS1_PKS3_PKPS1_EviiT4_lT5_lllSA_lllT6_lmli, .Lfunc_end63-_ZL18rocblas_ger_kernelILi32ELi32ELi2ELb1E19rocblas_complex_numIfEPKS1_PKS3_PKPS1_EviiT4_lT5_lllSA_lllT6_lmli
                                        ; -- End function
	.set _ZL18rocblas_ger_kernelILi32ELi32ELi2ELb1E19rocblas_complex_numIfEPKS1_PKS3_PKPS1_EviiT4_lT5_lllSA_lllT6_lmli.num_vgpr, 30
	.set _ZL18rocblas_ger_kernelILi32ELi32ELi2ELb1E19rocblas_complex_numIfEPKS1_PKS3_PKPS1_EviiT4_lT5_lllSA_lllT6_lmli.num_agpr, 0
	.set _ZL18rocblas_ger_kernelILi32ELi32ELi2ELb1E19rocblas_complex_numIfEPKS1_PKS3_PKPS1_EviiT4_lT5_lllSA_lllT6_lmli.numbered_sgpr, 38
	.set _ZL18rocblas_ger_kernelILi32ELi32ELi2ELb1E19rocblas_complex_numIfEPKS1_PKS3_PKPS1_EviiT4_lT5_lllSA_lllT6_lmli.num_named_barrier, 0
	.set _ZL18rocblas_ger_kernelILi32ELi32ELi2ELb1E19rocblas_complex_numIfEPKS1_PKS3_PKPS1_EviiT4_lT5_lllSA_lllT6_lmli.private_seg_size, 0
	.set _ZL18rocblas_ger_kernelILi32ELi32ELi2ELb1E19rocblas_complex_numIfEPKS1_PKS3_PKPS1_EviiT4_lT5_lllSA_lllT6_lmli.uses_vcc, 1
	.set _ZL18rocblas_ger_kernelILi32ELi32ELi2ELb1E19rocblas_complex_numIfEPKS1_PKS3_PKPS1_EviiT4_lT5_lllSA_lllT6_lmli.uses_flat_scratch, 0
	.set _ZL18rocblas_ger_kernelILi32ELi32ELi2ELb1E19rocblas_complex_numIfEPKS1_PKS3_PKPS1_EviiT4_lT5_lllSA_lllT6_lmli.has_dyn_sized_stack, 0
	.set _ZL18rocblas_ger_kernelILi32ELi32ELi2ELb1E19rocblas_complex_numIfEPKS1_PKS3_PKPS1_EviiT4_lT5_lllSA_lllT6_lmli.has_recursion, 0
	.set _ZL18rocblas_ger_kernelILi32ELi32ELi2ELb1E19rocblas_complex_numIfEPKS1_PKS3_PKPS1_EviiT4_lT5_lllSA_lllT6_lmli.has_indirect_call, 0
	.section	.AMDGPU.csdata,"",@progbits
; Kernel info:
; codeLenInByte = 1096
; TotalNumSgprs: 40
; NumVgprs: 30
; ScratchSize: 0
; MemoryBound: 0
; FloatMode: 240
; IeeeMode: 1
; LDSByteSize: 768 bytes/workgroup (compile time only)
; SGPRBlocks: 0
; VGPRBlocks: 1
; NumSGPRsForWavesPerEU: 40
; NumVGPRsForWavesPerEU: 30
; NamedBarCnt: 0
; Occupancy: 16
; WaveLimiterHint : 1
; COMPUTE_PGM_RSRC2:SCRATCH_EN: 0
; COMPUTE_PGM_RSRC2:USER_SGPR: 2
; COMPUTE_PGM_RSRC2:TRAP_HANDLER: 0
; COMPUTE_PGM_RSRC2:TGID_X_EN: 1
; COMPUTE_PGM_RSRC2:TGID_Y_EN: 0
; COMPUTE_PGM_RSRC2:TGID_Z_EN: 1
; COMPUTE_PGM_RSRC2:TIDIG_COMP_CNT: 1
	.section	.text._ZL18rocblas_ger_kernelILi32ELi32ELi2ELb1E19rocblas_complex_numIfES1_PKPKS1_PKPS1_EviiT4_lT5_lllSA_lllT6_lmli,"axG",@progbits,_ZL18rocblas_ger_kernelILi32ELi32ELi2ELb1E19rocblas_complex_numIfES1_PKPKS1_PKPS1_EviiT4_lT5_lllSA_lllT6_lmli,comdat
	.globl	_ZL18rocblas_ger_kernelILi32ELi32ELi2ELb1E19rocblas_complex_numIfES1_PKPKS1_PKPS1_EviiT4_lT5_lllSA_lllT6_lmli ; -- Begin function _ZL18rocblas_ger_kernelILi32ELi32ELi2ELb1E19rocblas_complex_numIfES1_PKPKS1_PKPS1_EviiT4_lT5_lllSA_lllT6_lmli
	.p2align	8
	.type	_ZL18rocblas_ger_kernelILi32ELi32ELi2ELb1E19rocblas_complex_numIfES1_PKPKS1_PKPS1_EviiT4_lT5_lllSA_lllT6_lmli,@function
_ZL18rocblas_ger_kernelILi32ELi32ELi2ELb1E19rocblas_complex_numIfES1_PKPKS1_PKPS1_EviiT4_lT5_lllSA_lllT6_lmli: ; @_ZL18rocblas_ger_kernelILi32ELi32ELi2ELb1E19rocblas_complex_numIfES1_PKPKS1_PKPS1_EviiT4_lT5_lllSA_lllT6_lmli
; %bb.0:
	s_load_b32 s26, s[0:1], 0x78
	s_bfe_u32 s2, ttmp6, 0x40014
	s_lshr_b32 s3, ttmp7, 16
	s_add_co_i32 s2, s2, 1
	s_bfe_u32 s5, ttmp6, 0x40008
	s_mul_i32 s4, s3, s2
	s_getreg_b32 s2, hwreg(HW_REG_IB_STS2, 6, 4)
	s_add_co_i32 s5, s5, s4
	s_cmp_eq_u32 s2, 0
	s_mov_b32 s21, 0
	s_cselect_b32 s20, s3, s5
	s_wait_kmcnt 0x0
	s_cmp_ge_u32 s20, s26
	s_cbranch_scc1 .LBB64_18
; %bb.1:
	s_clause 0x1
	s_load_b128 s[4:7], s[0:1], 0x0
	s_load_b128 s[16:19], s[0:1], 0x60
	s_bfe_u32 s10, ttmp6, 0x4000c
	s_and_b32 s9, ttmp6, 15
	s_add_co_i32 s10, s10, 1
	v_bfe_u32 v16, v0, 10, 10
	s_mul_i32 s10, ttmp9, s10
	v_and_b32_e32 v17, 0x3ff, v0
	s_add_co_i32 s12, s9, s10
	s_wait_kmcnt 0x0
	s_add_co_i32 s3, s4, -1
	s_delay_alu instid0(SALU_CYCLE_1) | instskip(NEXT) | instid1(SALU_CYCLE_1)
	s_ashr_i32 s8, s3, 31
	s_lshr_b32 s8, s8, 27
	s_delay_alu instid0(SALU_CYCLE_1) | instskip(NEXT) | instid1(SALU_CYCLE_1)
	s_add_co_i32 s3, s3, s8
	s_ashr_i32 s3, s3, 5
	s_delay_alu instid0(SALU_CYCLE_1) | instskip(SKIP_2) | instid1(SALU_CYCLE_3)
	s_add_co_i32 s22, s3, 1
	s_not_b32 s3, s3
	s_cvt_f32_u32 s8, s22
	v_rcp_iflag_f32_e32 v1, s8
	v_nop
	s_delay_alu instid0(TRANS32_DEP_1) | instskip(SKIP_2) | instid1(SALU_CYCLE_3)
	v_readfirstlane_b32 s8, v1
	v_lshlrev_b32_e32 v1, 1, v16
	s_mul_f32 s8, s8, 0x4f7ffffe
	s_cvt_u32_f32 s8, s8
	s_delay_alu instid0(SALU_CYCLE_3) | instskip(NEXT) | instid1(SALU_CYCLE_1)
	s_mul_i32 s3, s3, s8
	s_mul_hi_u32 s3, s8, s3
	s_delay_alu instid0(SALU_CYCLE_1)
	s_add_co_i32 s3, s8, s3
	s_cmp_eq_u32 s2, 0
	s_load_b128 s[8:11], s[0:1], 0x20
	s_cselect_b32 s2, ttmp9, s12
	s_load_b128 s[12:15], s[0:1], 0x40
	s_mul_hi_u32 s3, s2, s3
	s_delay_alu instid0(SALU_CYCLE_1) | instskip(SKIP_2) | instid1(SALU_CYCLE_1)
	s_mul_i32 s23, s3, s22
	s_add_co_i32 s24, s3, 1
	s_sub_co_i32 s23, s2, s23
	s_sub_co_i32 s25, s23, s22
	s_cmp_ge_u32 s23, s22
	s_cselect_b32 s3, s24, s3
	s_cselect_b32 s23, s25, s23
	s_add_co_i32 s24, s3, 1
	s_cmp_ge_u32 s23, s22
	s_cselect_b32 s3, s24, s3
	s_delay_alu instid0(SALU_CYCLE_1) | instskip(SKIP_3) | instid1(SALU_CYCLE_1)
	v_lshl_add_u32 v10, s3, 6, v1
	s_mul_i32 s22, s3, s22
	v_mov_b32_e32 v15, 0
	s_sub_co_i32 s2, s2, s22
	v_lshl_add_u32 v0, s2, 5, v17
	v_or_b32_e32 v12, 1, v10
	v_or_b32_e32 v14, v10, v17
	v_cmp_gt_u32_e64 s2, 2, v17
	s_delay_alu instid0(VALU_DEP_4) | instskip(NEXT) | instid1(VALU_DEP_4)
	v_dual_ashrrev_i32 v11, 31, v10 :: v_dual_ashrrev_i32 v1, 31, v0
	v_ashrrev_i32_e32 v13, 31, v12
	s_wait_kmcnt 0x0
	v_mul_u64_e32 v[2:3], s[14:15], v[14:15]
	v_cmp_gt_u32_e64 s3, s5, v14
	v_mul_u64_e32 v[6:7], s[18:19], v[10:11]
	v_mul_u64_e32 v[4:5], s[10:11], v[0:1]
	v_lshlrev_b32_e32 v11, 3, v17
	v_mul_u64_e32 v[8:9], s[18:19], v[12:13]
	s_clause 0x2
	s_load_b64 s[10:11], s[0:1], 0x58
	s_load_b64 s[14:15], s[0:1], 0x18
	;; [unrolled: 1-line block ×3, first 2 shown]
	v_lshlrev_b32_e32 v13, 4, v16
	s_wait_xcnt 0x0
	s_or_b32 s0, s6, s7
	v_cmp_gt_i32_e64 s1, s4, v0
	s_bitset0_b32 s0, 31
	v_cmp_gt_i32_e64 s4, s5, v10
	s_cmp_lg_u32 s0, 0
	v_cmp_eq_u32_e64 s0, 0, v16
	v_add_nc_u32_e32 v16, 0x200, v11
	v_add_nc_u32_e32 v17, v13, v11
	v_cmp_gt_i32_e64 s5, s5, v12
	s_cselect_b32 s27, -1, 0
	s_lshl_b64 s[8:9], s[8:9], 3
	s_lshl_b64 s[12:13], s[12:13], 3
	;; [unrolled: 1-line block ×3, first 2 shown]
	s_branch .LBB64_4
.LBB64_2:                               ;   in Loop: Header=BB64_4 Depth=1
	s_wait_xcnt 0x0
	s_or_b32 exec_lo, exec_lo, s24
.LBB64_3:                               ;   in Loop: Header=BB64_4 Depth=1
	s_add_co_i32 s20, s20, 0x10000
	s_delay_alu instid0(SALU_CYCLE_1)
	s_cmp_lt_u32 s20, s26
	s_cbranch_scc0 .LBB64_18
.LBB64_4:                               ; =>This Inner Loop Header: Depth=1
	s_and_not1_b32 vcc_lo, exec_lo, s27
	s_cbranch_vccnz .LBB64_3
; %bb.5:                                ;   in Loop: Header=BB64_4 Depth=1
	s_wait_kmcnt 0x0
	s_load_b64 s[24:25], s[18:19], s20 offset:0x0 scale_offset
	s_load_b64 s[22:23], s[10:11], s20 offset:0x0 scale_offset
	s_and_saveexec_b32 s28, s0
	s_cbranch_execz .LBB64_9
; %bb.6:                                ;   in Loop: Header=BB64_4 Depth=1
	v_dual_mov_b32 v10, 0 :: v_dual_mov_b32 v11, 0
	s_and_saveexec_b32 s29, s1
	s_cbranch_execz .LBB64_8
; %bb.7:                                ;   in Loop: Header=BB64_4 Depth=1
	s_lshl_b64 s[30:31], s[20:21], 3
	s_delay_alu instid0(SALU_CYCLE_1) | instskip(SKIP_4) | instid1(SALU_CYCLE_1)
	s_add_nc_u64 s[30:31], s[14:15], s[30:31]
	s_load_b64 s[30:31], s[30:31], 0x0
	s_wait_kmcnt 0x0
	s_wait_xcnt 0x0
	s_add_nc_u64 s[30:31], s[30:31], s[8:9]
	v_lshl_add_u64 v[10:11], v[4:5], 3, s[30:31]
	flat_load_b64 v[10:11], v[10:11]
.LBB64_8:                               ;   in Loop: Header=BB64_4 Depth=1
	s_wait_xcnt 0x0
	s_or_b32 exec_lo, exec_lo, s29
	s_wait_loadcnt_dscnt 0x0
	ds_store_b64 v16, v[10:11]
.LBB64_9:                               ;   in Loop: Header=BB64_4 Depth=1
	s_or_b32 exec_lo, exec_lo, s28
	s_and_saveexec_b32 s28, s2
	s_cbranch_execz .LBB64_13
; %bb.10:                               ;   in Loop: Header=BB64_4 Depth=1
	v_dual_mov_b32 v10, 0 :: v_dual_mov_b32 v11, 0
	s_and_saveexec_b32 s29, s3
	s_cbranch_execz .LBB64_12
; %bb.11:                               ;   in Loop: Header=BB64_4 Depth=1
	s_wait_kmcnt 0x0
	s_add_nc_u64 s[24:25], s[24:25], s[12:13]
	s_delay_alu instid0(SALU_CYCLE_1)
	v_lshl_add_u64 v[10:11], v[2:3], 3, s[24:25]
	flat_load_b64 v[10:11], v[10:11]
.LBB64_12:                              ;   in Loop: Header=BB64_4 Depth=1
	s_wait_xcnt 0x0
	s_or_b32 exec_lo, exec_lo, s29
	s_wait_loadcnt_dscnt 0x0
	ds_store_b64 v17, v[10:11]
.LBB64_13:                              ;   in Loop: Header=BB64_4 Depth=1
	s_or_b32 exec_lo, exec_lo, s28
	s_wait_dscnt 0x0
	s_barrier_signal -1
	s_barrier_wait -1
	s_wait_kmcnt 0x0
	s_and_saveexec_b32 s24, s1
	s_cbranch_execz .LBB64_2
; %bb.14:                               ;   in Loop: Header=BB64_4 Depth=1
	ds_load_b64 v[14:15], v16
	s_add_nc_u64 s[22:23], s[22:23], s[16:17]
	s_wait_dscnt 0x0
	v_dual_mul_f32 v11, s7, v15 :: v_dual_mul_f32 v10, s6, v15
	s_delay_alu instid0(VALU_DEP_1) | instskip(NEXT) | instid1(VALU_DEP_2)
	v_fma_f32 v12, v14, s6, -v11
	v_fmac_f32_e32 v10, s7, v14
	v_lshl_add_u64 v[14:15], v[0:1], 3, s[22:23]
	s_and_saveexec_b32 s22, s4
	s_cbranch_execz .LBB64_16
; %bb.15:                               ;   in Loop: Header=BB64_4 Depth=1
	s_delay_alu instid0(VALU_DEP_1) | instskip(SKIP_4) | instid1(VALU_DEP_1)
	v_lshl_add_u64 v[18:19], v[6:7], 3, v[14:15]
	ds_load_b64 v[22:23], v13
	flat_load_b64 v[20:21], v[18:19]
	s_wait_dscnt 0x1
	v_pk_mul_f32 v[24:25], v[12:13], v[22:23] op_sel_hi:[0,1]
	v_pk_fma_f32 v[26:27], v[10:11], v[22:23], v[24:25] op_sel:[0,1,0] op_sel_hi:[0,0,1] neg_lo:[0,0,1] neg_hi:[0,0,1]
	v_pk_fma_f32 v[22:23], v[10:11], v[22:23], v[24:25] op_sel:[0,1,0] op_sel_hi:[1,0,1]
	s_delay_alu instid0(VALU_DEP_2) | instskip(SKIP_1) | instid1(VALU_DEP_1)
	v_mov_b32_e32 v23, v27
	s_wait_loadcnt_dscnt 0x0
	v_pk_add_f32 v[20:21], v[20:21], v[22:23]
	flat_store_b64 v[18:19], v[20:21]
.LBB64_16:                              ;   in Loop: Header=BB64_4 Depth=1
	s_wait_xcnt 0x0
	s_or_b32 exec_lo, exec_lo, s22
	s_delay_alu instid0(SALU_CYCLE_1)
	s_and_b32 exec_lo, exec_lo, s5
	s_cbranch_execz .LBB64_2
; %bb.17:                               ;   in Loop: Header=BB64_4 Depth=1
	v_lshl_add_u64 v[14:15], v[8:9], 3, v[14:15]
	ds_load_b64 v[20:21], v13 offset:8
	flat_load_b64 v[18:19], v[14:15]
	s_wait_dscnt 0x1
	v_pk_mul_f32 v[22:23], v[12:13], v[20:21] op_sel_hi:[0,1]
	s_delay_alu instid0(VALU_DEP_1) | instskip(SKIP_1) | instid1(VALU_DEP_2)
	v_pk_fma_f32 v[24:25], v[10:11], v[20:21], v[22:23] op_sel:[0,1,0] op_sel_hi:[0,0,1] neg_lo:[0,0,1] neg_hi:[0,0,1]
	v_pk_fma_f32 v[10:11], v[10:11], v[20:21], v[22:23] op_sel:[0,1,0] op_sel_hi:[1,0,1]
	v_mov_b32_e32 v11, v25
	s_wait_loadcnt_dscnt 0x0
	s_delay_alu instid0(VALU_DEP_1)
	v_pk_add_f32 v[10:11], v[18:19], v[10:11]
	flat_store_b64 v[14:15], v[10:11]
	s_branch .LBB64_2
.LBB64_18:
	s_endpgm
	.section	.rodata,"a",@progbits
	.p2align	6, 0x0
	.amdhsa_kernel _ZL18rocblas_ger_kernelILi32ELi32ELi2ELb1E19rocblas_complex_numIfES1_PKPKS1_PKPS1_EviiT4_lT5_lllSA_lllT6_lmli
		.amdhsa_group_segment_fixed_size 768
		.amdhsa_private_segment_fixed_size 0
		.amdhsa_kernarg_size 124
		.amdhsa_user_sgpr_count 2
		.amdhsa_user_sgpr_dispatch_ptr 0
		.amdhsa_user_sgpr_queue_ptr 0
		.amdhsa_user_sgpr_kernarg_segment_ptr 1
		.amdhsa_user_sgpr_dispatch_id 0
		.amdhsa_user_sgpr_kernarg_preload_length 0
		.amdhsa_user_sgpr_kernarg_preload_offset 0
		.amdhsa_user_sgpr_private_segment_size 0
		.amdhsa_wavefront_size32 1
		.amdhsa_uses_dynamic_stack 0
		.amdhsa_enable_private_segment 0
		.amdhsa_system_sgpr_workgroup_id_x 1
		.amdhsa_system_sgpr_workgroup_id_y 0
		.amdhsa_system_sgpr_workgroup_id_z 1
		.amdhsa_system_sgpr_workgroup_info 0
		.amdhsa_system_vgpr_workitem_id 1
		.amdhsa_next_free_vgpr 28
		.amdhsa_next_free_sgpr 32
		.amdhsa_named_barrier_count 0
		.amdhsa_reserve_vcc 1
		.amdhsa_float_round_mode_32 0
		.amdhsa_float_round_mode_16_64 0
		.amdhsa_float_denorm_mode_32 3
		.amdhsa_float_denorm_mode_16_64 3
		.amdhsa_fp16_overflow 0
		.amdhsa_memory_ordered 1
		.amdhsa_forward_progress 1
		.amdhsa_inst_pref_size 9
		.amdhsa_round_robin_scheduling 0
		.amdhsa_exception_fp_ieee_invalid_op 0
		.amdhsa_exception_fp_denorm_src 0
		.amdhsa_exception_fp_ieee_div_zero 0
		.amdhsa_exception_fp_ieee_overflow 0
		.amdhsa_exception_fp_ieee_underflow 0
		.amdhsa_exception_fp_ieee_inexact 0
		.amdhsa_exception_int_div_zero 0
	.end_amdhsa_kernel
	.section	.text._ZL18rocblas_ger_kernelILi32ELi32ELi2ELb1E19rocblas_complex_numIfES1_PKPKS1_PKPS1_EviiT4_lT5_lllSA_lllT6_lmli,"axG",@progbits,_ZL18rocblas_ger_kernelILi32ELi32ELi2ELb1E19rocblas_complex_numIfES1_PKPKS1_PKPS1_EviiT4_lT5_lllSA_lllT6_lmli,comdat
.Lfunc_end64:
	.size	_ZL18rocblas_ger_kernelILi32ELi32ELi2ELb1E19rocblas_complex_numIfES1_PKPKS1_PKPS1_EviiT4_lT5_lllSA_lllT6_lmli, .Lfunc_end64-_ZL18rocblas_ger_kernelILi32ELi32ELi2ELb1E19rocblas_complex_numIfES1_PKPKS1_PKPS1_EviiT4_lT5_lllSA_lllT6_lmli
                                        ; -- End function
	.set _ZL18rocblas_ger_kernelILi32ELi32ELi2ELb1E19rocblas_complex_numIfES1_PKPKS1_PKPS1_EviiT4_lT5_lllSA_lllT6_lmli.num_vgpr, 28
	.set _ZL18rocblas_ger_kernelILi32ELi32ELi2ELb1E19rocblas_complex_numIfES1_PKPKS1_PKPS1_EviiT4_lT5_lllSA_lllT6_lmli.num_agpr, 0
	.set _ZL18rocblas_ger_kernelILi32ELi32ELi2ELb1E19rocblas_complex_numIfES1_PKPKS1_PKPS1_EviiT4_lT5_lllSA_lllT6_lmli.numbered_sgpr, 32
	.set _ZL18rocblas_ger_kernelILi32ELi32ELi2ELb1E19rocblas_complex_numIfES1_PKPKS1_PKPS1_EviiT4_lT5_lllSA_lllT6_lmli.num_named_barrier, 0
	.set _ZL18rocblas_ger_kernelILi32ELi32ELi2ELb1E19rocblas_complex_numIfES1_PKPKS1_PKPS1_EviiT4_lT5_lllSA_lllT6_lmli.private_seg_size, 0
	.set _ZL18rocblas_ger_kernelILi32ELi32ELi2ELb1E19rocblas_complex_numIfES1_PKPKS1_PKPS1_EviiT4_lT5_lllSA_lllT6_lmli.uses_vcc, 1
	.set _ZL18rocblas_ger_kernelILi32ELi32ELi2ELb1E19rocblas_complex_numIfES1_PKPKS1_PKPS1_EviiT4_lT5_lllSA_lllT6_lmli.uses_flat_scratch, 0
	.set _ZL18rocblas_ger_kernelILi32ELi32ELi2ELb1E19rocblas_complex_numIfES1_PKPKS1_PKPS1_EviiT4_lT5_lllSA_lllT6_lmli.has_dyn_sized_stack, 0
	.set _ZL18rocblas_ger_kernelILi32ELi32ELi2ELb1E19rocblas_complex_numIfES1_PKPKS1_PKPS1_EviiT4_lT5_lllSA_lllT6_lmli.has_recursion, 0
	.set _ZL18rocblas_ger_kernelILi32ELi32ELi2ELb1E19rocblas_complex_numIfES1_PKPKS1_PKPS1_EviiT4_lT5_lllSA_lllT6_lmli.has_indirect_call, 0
	.section	.AMDGPU.csdata,"",@progbits
; Kernel info:
; codeLenInByte = 1040
; TotalNumSgprs: 34
; NumVgprs: 28
; ScratchSize: 0
; MemoryBound: 0
; FloatMode: 240
; IeeeMode: 1
; LDSByteSize: 768 bytes/workgroup (compile time only)
; SGPRBlocks: 0
; VGPRBlocks: 1
; NumSGPRsForWavesPerEU: 34
; NumVGPRsForWavesPerEU: 28
; NamedBarCnt: 0
; Occupancy: 16
; WaveLimiterHint : 1
; COMPUTE_PGM_RSRC2:SCRATCH_EN: 0
; COMPUTE_PGM_RSRC2:USER_SGPR: 2
; COMPUTE_PGM_RSRC2:TRAP_HANDLER: 0
; COMPUTE_PGM_RSRC2:TGID_X_EN: 1
; COMPUTE_PGM_RSRC2:TGID_Y_EN: 0
; COMPUTE_PGM_RSRC2:TGID_Z_EN: 1
; COMPUTE_PGM_RSRC2:TIDIG_COMP_CNT: 1
	.section	.text._ZL34rocblas_ger_double_buffered_kernelILb1ELi64ELi16ELi2E19rocblas_complex_numIdE24rocblas_internal_val_ptrIS1_EPKPKS1_PKPS1_EvbiiT4_lT5_lllSC_lllT6_lmli,"axG",@progbits,_ZL34rocblas_ger_double_buffered_kernelILb1ELi64ELi16ELi2E19rocblas_complex_numIdE24rocblas_internal_val_ptrIS1_EPKPKS1_PKPS1_EvbiiT4_lT5_lllSC_lllT6_lmli,comdat
	.globl	_ZL34rocblas_ger_double_buffered_kernelILb1ELi64ELi16ELi2E19rocblas_complex_numIdE24rocblas_internal_val_ptrIS1_EPKPKS1_PKPS1_EvbiiT4_lT5_lllSC_lllT6_lmli ; -- Begin function _ZL34rocblas_ger_double_buffered_kernelILb1ELi64ELi16ELi2E19rocblas_complex_numIdE24rocblas_internal_val_ptrIS1_EPKPKS1_PKPS1_EvbiiT4_lT5_lllSC_lllT6_lmli
	.p2align	8
	.type	_ZL34rocblas_ger_double_buffered_kernelILb1ELi64ELi16ELi2E19rocblas_complex_numIdE24rocblas_internal_val_ptrIS1_EPKPKS1_PKPS1_EvbiiT4_lT5_lllSC_lllT6_lmli,@function
_ZL34rocblas_ger_double_buffered_kernelILb1ELi64ELi16ELi2E19rocblas_complex_numIdE24rocblas_internal_val_ptrIS1_EPKPKS1_PKPS1_EvbiiT4_lT5_lllSC_lllT6_lmli: ; @_ZL34rocblas_ger_double_buffered_kernelILb1ELi64ELi16ELi2E19rocblas_complex_numIdE24rocblas_internal_val_ptrIS1_EPKPKS1_PKPS1_EvbiiT4_lT5_lllSC_lllT6_lmli
; %bb.0:
	s_load_b32 s33, s[0:1], 0x88
	s_bfe_u32 s2, ttmp6, 0x40014
	s_lshr_b32 s3, ttmp7, 16
	s_add_co_i32 s2, s2, 1
	s_bfe_u32 s4, ttmp6, 0x40008
	s_mul_i32 s2, s3, s2
	s_getreg_b32 s26, hwreg(HW_REG_IB_STS2, 6, 4)
	s_add_co_i32 s4, s4, s2
	s_cmp_eq_u32 s26, 0
	s_cselect_b32 s2, s3, s4
	s_mov_b32 s3, 0
	s_wait_kmcnt 0x0
	s_cmp_ge_u32 s2, s33
	s_cbranch_scc1 .LBB65_8
; %bb.1:
	v_dual_lshrrev_b32 v1, 4, v0 :: v_dual_mov_b32 v5, 0
	s_load_b128 s[12:15], s[0:1], 0x70
	v_and_b32_e32 v2, 0x3ff, v0
	s_clause 0x1
	s_load_b128 s[20:23], s[0:1], 0x50
	s_load_b256 s[4:11], s[0:1], 0x20
	v_and_b32_e32 v1, 0xffc0, v1
	s_clause 0x2
	s_load_b32 s27, s[0:1], 0x0
	s_load_b128 s[16:19], s[0:1], 0x10
	s_load_b64 s[24:25], s[0:1], 0x68
	v_dual_add_nc_u32 v1, v1, v2 :: v_dual_bitop2_b32 v0, 31, v0 bitop3:0x40
	s_delay_alu instid0(VALU_DEP_1) | instskip(NEXT) | instid1(VALU_DEP_2)
	v_dual_mov_b32 v3, v5 :: v_dual_bitop2_b32 v2, 32, v0 bitop3:0x54
	v_dual_mov_b32 v1, v5 :: v_dual_lshrrev_b32 v10, 4, v1
	s_delay_alu instid0(VALU_DEP_1) | instskip(SKIP_1) | instid1(VALU_DEP_3)
	v_and_b32_e32 v4, 0x1ffe, v10
	s_wait_kmcnt 0x0
	v_mul_u64_e32 v[12:13], s[10:11], v[2:3]
	s_delay_alu instid0(VALU_DEP_2)
	v_mul_u64_e32 v[6:7], s[14:15], v[4:5]
	v_mul_u64_e32 v[8:9], s[22:23], v[4:5]
	v_or_b32_e32 v4, 1, v10
	v_mul_u64_e32 v[10:11], s[10:11], v[0:1]
	s_bitcmp1_b32 s27, 0
	s_cselect_b32 s27, -1, 0
	s_delay_alu instid0(VALU_DEP_2)
	v_mul_u64_e32 v[14:15], s[22:23], v[4:5]
	s_bfe_u32 s28, ttmp6, 0x4000c
	s_bfe_u32 s30, ttmp6, 0x40010
	s_add_co_i32 s28, s28, 1
	s_and_b32 s31, ttmp7, 0xffff
	s_add_co_i32 s30, s30, 1
	s_xor_b32 s29, s27, -1
	s_and_b32 s27, ttmp6, 15
	s_mul_i32 s28, ttmp9, s28
	s_mul_i32 s30, s31, s30
	s_bfe_u32 s34, ttmp6, 0x40004
	s_add_co_i32 s28, s27, s28
	s_add_co_i32 s34, s34, s30
	s_cmp_eq_u32 s26, 0
	s_load_b64 s[26:27], s[0:1], 0x48
	s_wait_xcnt 0x0
	s_cselect_b32 s0, ttmp9, s28
	v_cndmask_b32_e64 v1, 0, 1, s29
	s_cselect_b32 s1, s31, s34
	s_lshl_b32 s28, s0, 6
	s_lshl_b32 s0, s1, 6
	s_mov_b32 s1, s3
	s_ashr_i32 s29, s28, 31
	s_mul_u64 s[30:31], s[14:15], s[0:1]
	s_mul_u64 s[36:37], s[22:23], s[0:1]
	v_cmp_ne_u32_e64 s0, 1, v1
	v_lshlrev_b32_e32 v4, 4, v0
	s_mul_u64 s[34:35], s[10:11], s[28:29]
	s_lshl_b64 s[10:11], s[12:13], 4
	s_lshl_b64 s[12:13], s[20:21], 4
	;; [unrolled: 1-line block ×7, first 2 shown]
	s_branch .LBB65_3
.LBB65_2:                               ;   in Loop: Header=BB65_3 Depth=1
	s_add_co_i32 s2, s2, 0x10000
	s_delay_alu instid0(SALU_CYCLE_1)
	s_cmp_lt_u32 s2, s33
	s_cbranch_scc0 .LBB65_8
.LBB65_3:                               ; =>This Inner Loop Header: Depth=1
	s_and_b32 vcc_lo, exec_lo, s0
	s_cbranch_vccnz .LBB65_5
; %bb.4:                                ;   in Loop: Header=BB65_3 Depth=1
	s_wait_xcnt 0x0
	s_mul_u64 s[34:35], s[4:5], s[2:3]
	s_delay_alu instid0(SALU_CYCLE_1) | instskip(NEXT) | instid1(SALU_CYCLE_1)
	s_lshl_b64 s[34:35], s[34:35], 4
	s_add_nc_u64 s[34:35], s[16:17], s[34:35]
	global_load_b128 v[0:3], v5, s[34:35]
	s_branch .LBB65_6
.LBB65_5:                               ;   in Loop: Header=BB65_3 Depth=1
	s_wait_xcnt 0x3
	v_mov_b64_e32 v[2:3], s[18:19]
	v_mov_b64_e32 v[0:1], s[16:17]
.LBB65_6:                               ;   in Loop: Header=BB65_3 Depth=1
	s_wait_loadcnt 0x0
	s_delay_alu instid0(VALU_DEP_1) | instskip(NEXT) | instid1(VALU_DEP_3)
	v_cmp_neq_f64_e32 vcc_lo, 0, v[0:1]
	v_cmp_neq_f64_e64 s1, 0, v[2:3]
	s_or_b32 s1, vcc_lo, s1
	s_delay_alu instid0(SALU_CYCLE_1)
	s_and_not1_b32 vcc_lo, exec_lo, s1
	s_cbranch_vccnz .LBB65_2
; %bb.7:                                ;   in Loop: Header=BB65_3 Depth=1
	s_wait_xcnt 0x0
	s_lshl_b64 s[34:35], s[2:3], 3
	s_delay_alu instid0(SALU_CYCLE_1) | instskip(SKIP_4) | instid1(SALU_CYCLE_1)
	s_add_nc_u64 s[36:37], s[6:7], s[34:35]
	s_load_b64 s[36:37], s[36:37], 0x0
	s_wait_kmcnt 0x0
	s_wait_xcnt 0x0
	s_add_nc_u64 s[36:37], s[36:37], s[8:9]
	s_add_nc_u64 s[36:37], s[36:37], s[28:29]
	s_delay_alu instid0(SALU_CYCLE_1)
	v_lshl_add_u64 v[16:17], v[10:11], 4, s[36:37]
	v_lshl_add_u64 v[20:21], v[12:13], 4, s[36:37]
	s_add_nc_u64 s[36:37], s[26:27], s[34:35]
	s_add_nc_u64 s[34:35], s[24:25], s[34:35]
	s_load_b64 s[36:37], s[36:37], 0x0
	s_clause 0x1
	flat_load_b128 v[16:19], v[16:17]
	flat_load_b128 v[20:23], v[20:21]
	s_wait_kmcnt 0x0
	s_add_nc_u64 s[36:37], s[36:37], s[12:13]
	s_delay_alu instid0(SALU_CYCLE_1) | instskip(NEXT) | instid1(SALU_CYCLE_1)
	s_add_nc_u64 s[36:37], s[36:37], s[30:31]
	v_lshl_add_u64 v[32:33], v[8:9], 4, s[36:37]
	v_lshl_add_u64 v[34:35], v[14:15], 4, s[36:37]
	s_clause 0x1
	flat_load_b128 v[24:27], v[32:33]
	flat_load_b128 v[28:31], v[34:35]
	s_load_b64 s[34:35], s[34:35], 0x0
	s_wait_kmcnt 0x0
	s_wait_xcnt 0x0
	s_add_nc_u64 s[34:35], s[34:35], s[10:11]
	s_delay_alu instid0(SALU_CYCLE_1) | instskip(NEXT) | instid1(SALU_CYCLE_1)
	s_add_nc_u64 s[34:35], s[34:35], s[20:21]
	s_add_nc_u64 s[34:35], s[34:35], s[22:23]
	s_delay_alu instid0(SALU_CYCLE_1) | instskip(NEXT) | instid1(VALU_DEP_1)
	v_lshl_add_u64 v[32:33], v[6:7], 4, s[34:35]
	v_add_nc_u64_e32 v[48:49], v[32:33], v[4:5]
	s_delay_alu instid0(VALU_DEP_1)
	v_lshl_add_u64 v[50:51], s[14:15], 4, v[48:49]
	s_clause 0x3
	flat_load_b128 v[32:35], v[48:49]
	flat_load_b128 v[36:39], v[50:51]
	flat_load_b128 v[40:43], v[48:49] offset:512
	flat_load_b128 v[44:47], v[50:51] offset:512
	s_wait_loadcnt_dscnt 0x707
	v_mul_f64_e32 v[52:53], v[0:1], v[18:19]
	v_mul_f64_e32 v[18:19], v[2:3], v[18:19]
	s_wait_loadcnt_dscnt 0x606
	v_mul_f64_e32 v[54:55], v[0:1], v[22:23]
	v_mul_f64_e32 v[22:23], v[2:3], v[22:23]
	s_delay_alu instid0(VALU_DEP_4) | instskip(NEXT) | instid1(VALU_DEP_4)
	v_fmac_f64_e32 v[52:53], v[2:3], v[16:17]
	v_fma_f64 v[16:17], v[0:1], v[16:17], -v[18:19]
	s_delay_alu instid0(VALU_DEP_4) | instskip(NEXT) | instid1(VALU_DEP_4)
	v_fmac_f64_e32 v[54:55], v[2:3], v[20:21]
	v_fma_f64 v[0:1], v[0:1], v[20:21], -v[22:23]
	s_wait_loadcnt_dscnt 0x505
	s_delay_alu instid0(VALU_DEP_4)
	v_mul_f64_e32 v[2:3], v[52:53], v[26:27]
	s_wait_loadcnt_dscnt 0x404
	v_mul_f64_e32 v[18:19], v[52:53], v[30:31]
	v_mul_f64_e32 v[20:21], v[16:17], v[26:27]
	;; [unrolled: 1-line block ×6, first 2 shown]
	v_fmac_f64_e32 v[2:3], v[16:17], v[24:25]
	v_fmac_f64_e32 v[18:19], v[16:17], v[28:29]
	v_fma_f64 v[16:17], v[52:53], v[24:25], -v[20:21]
	v_fma_f64 v[20:21], v[52:53], v[28:29], -v[22:23]
	v_mul_f64_e32 v[22:23], v[0:1], v[30:31]
	v_fmac_f64_e32 v[56:57], v[0:1], v[24:25]
	v_fma_f64 v[24:25], v[54:55], v[24:25], -v[26:27]
	v_fmac_f64_e32 v[58:59], v[0:1], v[28:29]
	s_wait_loadcnt_dscnt 0x303
	v_add_f64_e32 v[0:1], v[32:33], v[2:3]
	v_add_f64_e32 v[2:3], v[16:17], v[34:35]
	s_wait_loadcnt_dscnt 0x202
	v_add_f64_e32 v[16:17], v[36:37], v[18:19]
	v_fma_f64 v[26:27], v[54:55], v[28:29], -v[22:23]
	v_add_f64_e32 v[18:19], v[20:21], v[38:39]
	s_wait_loadcnt_dscnt 0x101
	v_add_f64_e32 v[20:21], v[40:41], v[56:57]
	v_add_f64_e32 v[22:23], v[24:25], v[42:43]
	s_wait_loadcnt_dscnt 0x0
	v_add_f64_e32 v[24:25], v[44:45], v[58:59]
	v_add_f64_e32 v[26:27], v[26:27], v[46:47]
	s_clause 0x3
	flat_store_b128 v[48:49], v[0:3]
	flat_store_b128 v[50:51], v[16:19]
	flat_store_b128 v[48:49], v[20:23] offset:512
	flat_store_b128 v[50:51], v[24:27] offset:512
	s_branch .LBB65_2
.LBB65_8:
	s_endpgm
	.section	.rodata,"a",@progbits
	.p2align	6, 0x0
	.amdhsa_kernel _ZL34rocblas_ger_double_buffered_kernelILb1ELi64ELi16ELi2E19rocblas_complex_numIdE24rocblas_internal_val_ptrIS1_EPKPKS1_PKPS1_EvbiiT4_lT5_lllSC_lllT6_lmli
		.amdhsa_group_segment_fixed_size 0
		.amdhsa_private_segment_fixed_size 0
		.amdhsa_kernarg_size 140
		.amdhsa_user_sgpr_count 2
		.amdhsa_user_sgpr_dispatch_ptr 0
		.amdhsa_user_sgpr_queue_ptr 0
		.amdhsa_user_sgpr_kernarg_segment_ptr 1
		.amdhsa_user_sgpr_dispatch_id 0
		.amdhsa_user_sgpr_kernarg_preload_length 0
		.amdhsa_user_sgpr_kernarg_preload_offset 0
		.amdhsa_user_sgpr_private_segment_size 0
		.amdhsa_wavefront_size32 1
		.amdhsa_uses_dynamic_stack 0
		.amdhsa_enable_private_segment 0
		.amdhsa_system_sgpr_workgroup_id_x 1
		.amdhsa_system_sgpr_workgroup_id_y 1
		.amdhsa_system_sgpr_workgroup_id_z 1
		.amdhsa_system_sgpr_workgroup_info 0
		.amdhsa_system_vgpr_workitem_id 1
		.amdhsa_next_free_vgpr 60
		.amdhsa_next_free_sgpr 38
		.amdhsa_named_barrier_count 0
		.amdhsa_reserve_vcc 1
		.amdhsa_float_round_mode_32 0
		.amdhsa_float_round_mode_16_64 0
		.amdhsa_float_denorm_mode_32 3
		.amdhsa_float_denorm_mode_16_64 3
		.amdhsa_fp16_overflow 0
		.amdhsa_memory_ordered 1
		.amdhsa_forward_progress 1
		.amdhsa_inst_pref_size 9
		.amdhsa_round_robin_scheduling 0
		.amdhsa_exception_fp_ieee_invalid_op 0
		.amdhsa_exception_fp_denorm_src 0
		.amdhsa_exception_fp_ieee_div_zero 0
		.amdhsa_exception_fp_ieee_overflow 0
		.amdhsa_exception_fp_ieee_underflow 0
		.amdhsa_exception_fp_ieee_inexact 0
		.amdhsa_exception_int_div_zero 0
	.end_amdhsa_kernel
	.section	.text._ZL34rocblas_ger_double_buffered_kernelILb1ELi64ELi16ELi2E19rocblas_complex_numIdE24rocblas_internal_val_ptrIS1_EPKPKS1_PKPS1_EvbiiT4_lT5_lllSC_lllT6_lmli,"axG",@progbits,_ZL34rocblas_ger_double_buffered_kernelILb1ELi64ELi16ELi2E19rocblas_complex_numIdE24rocblas_internal_val_ptrIS1_EPKPKS1_PKPS1_EvbiiT4_lT5_lllSC_lllT6_lmli,comdat
.Lfunc_end65:
	.size	_ZL34rocblas_ger_double_buffered_kernelILb1ELi64ELi16ELi2E19rocblas_complex_numIdE24rocblas_internal_val_ptrIS1_EPKPKS1_PKPS1_EvbiiT4_lT5_lllSC_lllT6_lmli, .Lfunc_end65-_ZL34rocblas_ger_double_buffered_kernelILb1ELi64ELi16ELi2E19rocblas_complex_numIdE24rocblas_internal_val_ptrIS1_EPKPKS1_PKPS1_EvbiiT4_lT5_lllSC_lllT6_lmli
                                        ; -- End function
	.set _ZL34rocblas_ger_double_buffered_kernelILb1ELi64ELi16ELi2E19rocblas_complex_numIdE24rocblas_internal_val_ptrIS1_EPKPKS1_PKPS1_EvbiiT4_lT5_lllSC_lllT6_lmli.num_vgpr, 60
	.set _ZL34rocblas_ger_double_buffered_kernelILb1ELi64ELi16ELi2E19rocblas_complex_numIdE24rocblas_internal_val_ptrIS1_EPKPKS1_PKPS1_EvbiiT4_lT5_lllSC_lllT6_lmli.num_agpr, 0
	.set _ZL34rocblas_ger_double_buffered_kernelILb1ELi64ELi16ELi2E19rocblas_complex_numIdE24rocblas_internal_val_ptrIS1_EPKPKS1_PKPS1_EvbiiT4_lT5_lllSC_lllT6_lmli.numbered_sgpr, 38
	.set _ZL34rocblas_ger_double_buffered_kernelILb1ELi64ELi16ELi2E19rocblas_complex_numIdE24rocblas_internal_val_ptrIS1_EPKPKS1_PKPS1_EvbiiT4_lT5_lllSC_lllT6_lmli.num_named_barrier, 0
	.set _ZL34rocblas_ger_double_buffered_kernelILb1ELi64ELi16ELi2E19rocblas_complex_numIdE24rocblas_internal_val_ptrIS1_EPKPKS1_PKPS1_EvbiiT4_lT5_lllSC_lllT6_lmli.private_seg_size, 0
	.set _ZL34rocblas_ger_double_buffered_kernelILb1ELi64ELi16ELi2E19rocblas_complex_numIdE24rocblas_internal_val_ptrIS1_EPKPKS1_PKPS1_EvbiiT4_lT5_lllSC_lllT6_lmli.uses_vcc, 1
	.set _ZL34rocblas_ger_double_buffered_kernelILb1ELi64ELi16ELi2E19rocblas_complex_numIdE24rocblas_internal_val_ptrIS1_EPKPKS1_PKPS1_EvbiiT4_lT5_lllSC_lllT6_lmli.uses_flat_scratch, 1
	.set _ZL34rocblas_ger_double_buffered_kernelILb1ELi64ELi16ELi2E19rocblas_complex_numIdE24rocblas_internal_val_ptrIS1_EPKPKS1_PKPS1_EvbiiT4_lT5_lllSC_lllT6_lmli.has_dyn_sized_stack, 0
	.set _ZL34rocblas_ger_double_buffered_kernelILb1ELi64ELi16ELi2E19rocblas_complex_numIdE24rocblas_internal_val_ptrIS1_EPKPKS1_PKPS1_EvbiiT4_lT5_lllSC_lllT6_lmli.has_recursion, 0
	.set _ZL34rocblas_ger_double_buffered_kernelILb1ELi64ELi16ELi2E19rocblas_complex_numIdE24rocblas_internal_val_ptrIS1_EPKPKS1_PKPS1_EvbiiT4_lT5_lllSC_lllT6_lmli.has_indirect_call, 0
	.section	.AMDGPU.csdata,"",@progbits
; Kernel info:
; codeLenInByte = 1056
; TotalNumSgprs: 40
; NumVgprs: 60
; ScratchSize: 0
; MemoryBound: 1
; FloatMode: 240
; IeeeMode: 1
; LDSByteSize: 0 bytes/workgroup (compile time only)
; SGPRBlocks: 0
; VGPRBlocks: 3
; NumSGPRsForWavesPerEU: 40
; NumVGPRsForWavesPerEU: 60
; NamedBarCnt: 0
; Occupancy: 16
; WaveLimiterHint : 1
; COMPUTE_PGM_RSRC2:SCRATCH_EN: 0
; COMPUTE_PGM_RSRC2:USER_SGPR: 2
; COMPUTE_PGM_RSRC2:TRAP_HANDLER: 0
; COMPUTE_PGM_RSRC2:TGID_X_EN: 1
; COMPUTE_PGM_RSRC2:TGID_Y_EN: 1
; COMPUTE_PGM_RSRC2:TGID_Z_EN: 1
; COMPUTE_PGM_RSRC2:TIDIG_COMP_CNT: 1
	.section	.text._ZL18rocblas_ger_kernelILi32ELi32ELi2ELb1E19rocblas_complex_numIdEPKS1_PKS3_PKPS1_EviiT4_lT5_lllSA_lllT6_lmli,"axG",@progbits,_ZL18rocblas_ger_kernelILi32ELi32ELi2ELb1E19rocblas_complex_numIdEPKS1_PKS3_PKPS1_EviiT4_lT5_lllSA_lllT6_lmli,comdat
	.globl	_ZL18rocblas_ger_kernelILi32ELi32ELi2ELb1E19rocblas_complex_numIdEPKS1_PKS3_PKPS1_EviiT4_lT5_lllSA_lllT6_lmli ; -- Begin function _ZL18rocblas_ger_kernelILi32ELi32ELi2ELb1E19rocblas_complex_numIdEPKS1_PKS3_PKPS1_EviiT4_lT5_lllSA_lllT6_lmli
	.p2align	8
	.type	_ZL18rocblas_ger_kernelILi32ELi32ELi2ELb1E19rocblas_complex_numIdEPKS1_PKS3_PKPS1_EviiT4_lT5_lllSA_lllT6_lmli,@function
_ZL18rocblas_ger_kernelILi32ELi32ELi2ELb1E19rocblas_complex_numIdEPKS1_PKS3_PKPS1_EviiT4_lT5_lllSA_lllT6_lmli: ; @_ZL18rocblas_ger_kernelILi32ELi32ELi2ELb1E19rocblas_complex_numIdEPKS1_PKS3_PKPS1_EviiT4_lT5_lllSA_lllT6_lmli
; %bb.0:
	s_load_b32 s30, s[0:1], 0x78
	s_bfe_u32 s2, ttmp6, 0x40014
	s_lshr_b32 s3, ttmp7, 16
	s_add_co_i32 s2, s2, 1
	s_bfe_u32 s5, ttmp6, 0x40008
	s_mul_i32 s4, s3, s2
	s_getreg_b32 s2, hwreg(HW_REG_IB_STS2, 6, 4)
	s_add_co_i32 s5, s5, s4
	s_cmp_eq_u32 s2, 0
	s_mov_b32 s25, 0
	s_cselect_b32 s24, s3, s5
	s_wait_kmcnt 0x0
	s_cmp_ge_u32 s24, s30
	s_cbranch_scc1 .LBB66_18
; %bb.1:
	s_clause 0x1
	s_load_b64 s[4:5], s[0:1], 0x0
	s_load_b128 s[8:11], s[0:1], 0x8
	s_bfe_u32 s13, ttmp6, 0x4000c
	s_and_b32 s12, ttmp6, 15
	s_add_co_i32 s13, s13, 1
	v_bfe_u32 v4, v0, 10, 10
	s_mul_i32 s13, ttmp9, s13
	s_load_b128 s[20:23], s[0:1], 0x60
	s_add_co_i32 s16, s12, s13
	s_load_b128 s[12:15], s[0:1], 0x20
	v_and_b32_e32 v5, 0x3ff, v0
	v_dual_mov_b32 v11, 0 :: v_dual_lshlrev_b32 v20, 5, v4
	s_wait_kmcnt 0x0
	s_add_co_i32 s3, s4, -1
	s_delay_alu instid0(SALU_CYCLE_1) | instskip(NEXT) | instid1(SALU_CYCLE_1)
	s_ashr_i32 s6, s3, 31
	s_lshr_b32 s6, s6, 27
	s_delay_alu instid0(SALU_CYCLE_1) | instskip(NEXT) | instid1(SALU_CYCLE_1)
	s_add_co_i32 s3, s3, s6
	s_ashr_i32 s3, s3, 5
	s_delay_alu instid0(SALU_CYCLE_1) | instskip(SKIP_2) | instid1(SALU_CYCLE_3)
	s_add_co_i32 s6, s3, 1
	s_not_b32 s3, s3
	s_cvt_f32_u32 s7, s6
	v_rcp_iflag_f32_e32 v1, s7
	v_nop
	s_delay_alu instid0(TRANS32_DEP_1) | instskip(SKIP_2) | instid1(SALU_CYCLE_3)
	v_readfirstlane_b32 s7, v1
	v_lshlrev_b32_e32 v1, 1, v4
	s_mul_f32 s7, s7, 0x4f7ffffe
	s_cvt_u32_f32 s7, s7
	s_delay_alu instid0(SALU_CYCLE_3) | instskip(NEXT) | instid1(SALU_CYCLE_1)
	s_mul_i32 s3, s3, s7
	s_mul_hi_u32 s3, s7, s3
	s_delay_alu instid0(SALU_CYCLE_1) | instskip(SKIP_4) | instid1(SALU_CYCLE_1)
	s_add_co_i32 s7, s7, s3
	s_cmp_eq_u32 s2, 0
	s_cselect_b32 s2, ttmp9, s16
	s_load_b128 s[16:19], s[0:1], 0x40
	s_mul_hi_u32 s3, s2, s7
	s_mul_i32 s7, s3, s6
	s_add_co_i32 s26, s3, 1
	s_sub_co_i32 s7, s2, s7
	s_delay_alu instid0(SALU_CYCLE_1)
	s_sub_co_i32 s27, s7, s6
	s_cmp_ge_u32 s7, s6
	s_cselect_b32 s3, s26, s3
	s_cselect_b32 s7, s27, s7
	s_add_co_i32 s26, s3, 1
	s_cmp_ge_u32 s7, s6
	s_cselect_b32 s3, s26, s3
	s_lshl_b64 s[12:13], s[12:13], 4
	v_lshl_add_u32 v0, s3, 6, v1
	s_mul_i32 s6, s3, s6
	s_lshl_b64 s[20:21], s[20:21], 4
	s_sub_co_i32 s2, s2, s6
	s_wait_kmcnt 0x0
	s_lshl_b64 s[16:17], s[16:17], 4
	v_lshl_add_u32 v8, s2, 5, v5
	v_dual_ashrrev_i32 v1, 31, v0 :: v_dual_bitop2_b32 v2, 1, v0 bitop3:0x54
	v_or_b32_e32 v10, v0, v5
	v_cmp_gt_u32_e64 s2, 2, v5
	s_delay_alu instid0(VALU_DEP_3) | instskip(NEXT) | instid1(VALU_DEP_4)
	v_dual_ashrrev_i32 v9, 31, v8 :: v_dual_ashrrev_i32 v3, 31, v2
	v_mul_u64_e32 v[16:17], s[22:23], v[0:1]
	s_delay_alu instid0(VALU_DEP_4) | instskip(SKIP_1) | instid1(VALU_DEP_4)
	v_mul_u64_e32 v[12:13], s[18:19], v[10:11]
	v_lshlrev_b32_e32 v1, 4, v5
	v_mul_u64_e32 v[14:15], s[14:15], v[8:9]
	v_mul_u64_e32 v[18:19], s[22:23], v[2:3]
	s_clause 0x2
	s_load_b64 s[14:15], s[0:1], 0x58
	s_load_b64 s[18:19], s[0:1], 0x18
	s_load_b64 s[22:23], s[0:1], 0x38
	s_wait_xcnt 0x0
	v_cmp_eq_u32_e64 s0, 0, v4
	v_cmp_gt_i32_e64 s1, s4, v8
	v_add_nc_u32_e32 v21, 0x400, v1
	v_cmp_gt_u32_e64 s3, s5, v10
	v_add_nc_u32_e32 v10, v20, v1
	v_cmp_gt_i32_e64 s4, s5, v0
	v_cmp_gt_i32_e64 s5, s5, v2
	s_branch .LBB66_4
.LBB66_2:                               ;   in Loop: Header=BB66_4 Depth=1
	s_wait_xcnt 0x0
	s_or_b32 exec_lo, exec_lo, s26
.LBB66_3:                               ;   in Loop: Header=BB66_4 Depth=1
	s_add_co_i32 s24, s24, 0x10000
	s_delay_alu instid0(SALU_CYCLE_1)
	s_cmp_lt_u32 s24, s30
	s_cbranch_scc0 .LBB66_18
.LBB66_4:                               ; =>This Inner Loop Header: Depth=1
	s_mul_u64 s[6:7], s[10:11], s[24:25]
	s_delay_alu instid0(SALU_CYCLE_1) | instskip(NEXT) | instid1(SALU_CYCLE_1)
	s_lshl_b64 s[6:7], s[6:7], 4
	s_add_nc_u64 s[6:7], s[8:9], s[6:7]
	global_load_b128 v[0:3], v11, s[6:7]
	s_wait_loadcnt 0x0
	v_cmp_neq_f64_e32 vcc_lo, 0, v[0:1]
	s_wait_xcnt 0x0
	v_cmp_neq_f64_e64 s6, 0, v[2:3]
	s_or_b32 s6, vcc_lo, s6
	s_delay_alu instid0(SALU_CYCLE_1)
	s_and_not1_b32 vcc_lo, exec_lo, s6
	s_cbranch_vccnz .LBB66_3
; %bb.5:                                ;   in Loop: Header=BB66_4 Depth=1
	s_lshl_b64 s[28:29], s[24:25], 3
	s_wait_kmcnt 0x0
	s_add_nc_u64 s[34:35], s[22:23], s[28:29]
	s_add_nc_u64 s[36:37], s[14:15], s[28:29]
	s_load_b64 s[26:27], s[34:35], 0x0
	s_load_b64 s[6:7], s[36:37], 0x0
	s_and_saveexec_b32 s31, s0
	s_cbranch_execz .LBB66_9
; %bb.6:                                ;   in Loop: Header=BB66_4 Depth=1
	v_mov_b64_e32 v[4:5], 0
	v_mov_b64_e32 v[6:7], 0
	s_and_saveexec_b32 s33, s1
	s_cbranch_execz .LBB66_8
; %bb.7:                                ;   in Loop: Header=BB66_4 Depth=1
	s_add_nc_u64 s[28:29], s[18:19], s[28:29]
	s_load_b64 s[28:29], s[28:29], 0x0
	s_wait_kmcnt 0x0
	s_wait_xcnt 0x0
	s_add_nc_u64 s[28:29], s[28:29], s[12:13]
	s_delay_alu instid0(SALU_CYCLE_1)
	v_lshl_add_u64 v[4:5], v[14:15], 4, s[28:29]
	flat_load_b128 v[4:7], v[4:5]
.LBB66_8:                               ;   in Loop: Header=BB66_4 Depth=1
	s_wait_xcnt 0x0
	s_or_b32 exec_lo, exec_lo, s33
	s_wait_loadcnt_dscnt 0x0
	ds_store_b128 v21, v[4:7]
.LBB66_9:                               ;   in Loop: Header=BB66_4 Depth=1
	s_or_b32 exec_lo, exec_lo, s31
	s_and_saveexec_b32 s28, s2
	s_cbranch_execz .LBB66_13
; %bb.10:                               ;   in Loop: Header=BB66_4 Depth=1
	v_mov_b64_e32 v[4:5], 0
	v_mov_b64_e32 v[6:7], 0
	s_and_saveexec_b32 s29, s3
	s_cbranch_execz .LBB66_12
; %bb.11:                               ;   in Loop: Header=BB66_4 Depth=1
	s_wait_kmcnt 0x0
	s_add_nc_u64 s[26:27], s[26:27], s[16:17]
	s_delay_alu instid0(SALU_CYCLE_1)
	v_lshl_add_u64 v[4:5], v[12:13], 4, s[26:27]
	flat_load_b128 v[4:7], v[4:5]
.LBB66_12:                              ;   in Loop: Header=BB66_4 Depth=1
	s_wait_xcnt 0x0
	s_or_b32 exec_lo, exec_lo, s29
	s_wait_loadcnt_dscnt 0x0
	ds_store_b128 v10, v[4:7]
.LBB66_13:                              ;   in Loop: Header=BB66_4 Depth=1
	s_or_b32 exec_lo, exec_lo, s28
	s_wait_dscnt 0x0
	s_barrier_signal -1
	s_barrier_wait -1
	s_wait_kmcnt 0x0
	s_and_saveexec_b32 s26, s1
	s_cbranch_execz .LBB66_2
; %bb.14:                               ;   in Loop: Header=BB66_4 Depth=1
	ds_load_b128 v[22:25], v21
	s_add_nc_u64 s[6:7], s[6:7], s[20:21]
	s_wait_dscnt 0x0
	v_mul_f64_e32 v[6:7], v[2:3], v[24:25]
	v_mul_f64_e32 v[4:5], v[0:1], v[24:25]
	s_delay_alu instid0(VALU_DEP_2) | instskip(NEXT) | instid1(VALU_DEP_2)
	v_fma_f64 v[0:1], v[0:1], v[22:23], -v[6:7]
	v_fmac_f64_e32 v[4:5], v[2:3], v[22:23]
	v_lshl_add_u64 v[2:3], v[8:9], 4, s[6:7]
	s_and_saveexec_b32 s6, s4
	s_cbranch_execz .LBB66_16
; %bb.15:                               ;   in Loop: Header=BB66_4 Depth=1
	s_delay_alu instid0(VALU_DEP_1)
	v_lshl_add_u64 v[6:7], v[16:17], 4, v[2:3]
	ds_load_b128 v[26:29], v20
	flat_load_b128 v[22:25], v[6:7]
	s_wait_dscnt 0x1
	v_mul_f64_e32 v[30:31], v[4:5], v[28:29]
	v_mul_f64_e32 v[28:29], v[0:1], v[28:29]
	s_delay_alu instid0(VALU_DEP_2) | instskip(NEXT) | instid1(VALU_DEP_2)
	v_fmac_f64_e32 v[30:31], v[0:1], v[26:27]
	v_fma_f64 v[26:27], v[4:5], v[26:27], -v[28:29]
	s_wait_loadcnt_dscnt 0x0
	s_delay_alu instid0(VALU_DEP_2) | instskip(NEXT) | instid1(VALU_DEP_2)
	v_add_f64_e32 v[22:23], v[22:23], v[30:31]
	v_add_f64_e32 v[24:25], v[26:27], v[24:25]
	flat_store_b128 v[6:7], v[22:25]
.LBB66_16:                              ;   in Loop: Header=BB66_4 Depth=1
	s_wait_xcnt 0x0
	s_or_b32 exec_lo, exec_lo, s6
	s_delay_alu instid0(SALU_CYCLE_1)
	s_and_b32 exec_lo, exec_lo, s5
	s_cbranch_execz .LBB66_2
; %bb.17:                               ;   in Loop: Header=BB66_4 Depth=1
	v_lshl_add_u64 v[6:7], v[18:19], 4, v[2:3]
	ds_load_b128 v[26:29], v20 offset:16
	flat_load_b128 v[22:25], v[6:7]
	s_wait_dscnt 0x1
	v_mul_f64_e32 v[2:3], v[4:5], v[28:29]
	v_mul_f64_e32 v[28:29], v[0:1], v[28:29]
	s_delay_alu instid0(VALU_DEP_2) | instskip(NEXT) | instid1(VALU_DEP_2)
	v_fmac_f64_e32 v[2:3], v[0:1], v[26:27]
	v_fma_f64 v[4:5], v[4:5], v[26:27], -v[28:29]
	s_wait_loadcnt_dscnt 0x0
	s_delay_alu instid0(VALU_DEP_2) | instskip(NEXT) | instid1(VALU_DEP_2)
	v_add_f64_e32 v[0:1], v[22:23], v[2:3]
	v_add_f64_e32 v[2:3], v[4:5], v[24:25]
	flat_store_b128 v[6:7], v[0:3]
	s_branch .LBB66_2
.LBB66_18:
	s_endpgm
	.section	.rodata,"a",@progbits
	.p2align	6, 0x0
	.amdhsa_kernel _ZL18rocblas_ger_kernelILi32ELi32ELi2ELb1E19rocblas_complex_numIdEPKS1_PKS3_PKPS1_EviiT4_lT5_lllSA_lllT6_lmli
		.amdhsa_group_segment_fixed_size 1536
		.amdhsa_private_segment_fixed_size 0
		.amdhsa_kernarg_size 124
		.amdhsa_user_sgpr_count 2
		.amdhsa_user_sgpr_dispatch_ptr 0
		.amdhsa_user_sgpr_queue_ptr 0
		.amdhsa_user_sgpr_kernarg_segment_ptr 1
		.amdhsa_user_sgpr_dispatch_id 0
		.amdhsa_user_sgpr_kernarg_preload_length 0
		.amdhsa_user_sgpr_kernarg_preload_offset 0
		.amdhsa_user_sgpr_private_segment_size 0
		.amdhsa_wavefront_size32 1
		.amdhsa_uses_dynamic_stack 0
		.amdhsa_enable_private_segment 0
		.amdhsa_system_sgpr_workgroup_id_x 1
		.amdhsa_system_sgpr_workgroup_id_y 0
		.amdhsa_system_sgpr_workgroup_id_z 1
		.amdhsa_system_sgpr_workgroup_info 0
		.amdhsa_system_vgpr_workitem_id 1
		.amdhsa_next_free_vgpr 32
		.amdhsa_next_free_sgpr 38
		.amdhsa_named_barrier_count 0
		.amdhsa_reserve_vcc 1
		.amdhsa_float_round_mode_32 0
		.amdhsa_float_round_mode_16_64 0
		.amdhsa_float_denorm_mode_32 3
		.amdhsa_float_denorm_mode_16_64 3
		.amdhsa_fp16_overflow 0
		.amdhsa_memory_ordered 1
		.amdhsa_forward_progress 1
		.amdhsa_inst_pref_size 9
		.amdhsa_round_robin_scheduling 0
		.amdhsa_exception_fp_ieee_invalid_op 0
		.amdhsa_exception_fp_denorm_src 0
		.amdhsa_exception_fp_ieee_div_zero 0
		.amdhsa_exception_fp_ieee_overflow 0
		.amdhsa_exception_fp_ieee_underflow 0
		.amdhsa_exception_fp_ieee_inexact 0
		.amdhsa_exception_int_div_zero 0
	.end_amdhsa_kernel
	.section	.text._ZL18rocblas_ger_kernelILi32ELi32ELi2ELb1E19rocblas_complex_numIdEPKS1_PKS3_PKPS1_EviiT4_lT5_lllSA_lllT6_lmli,"axG",@progbits,_ZL18rocblas_ger_kernelILi32ELi32ELi2ELb1E19rocblas_complex_numIdEPKS1_PKS3_PKPS1_EviiT4_lT5_lllSA_lllT6_lmli,comdat
.Lfunc_end66:
	.size	_ZL18rocblas_ger_kernelILi32ELi32ELi2ELb1E19rocblas_complex_numIdEPKS1_PKS3_PKPS1_EviiT4_lT5_lllSA_lllT6_lmli, .Lfunc_end66-_ZL18rocblas_ger_kernelILi32ELi32ELi2ELb1E19rocblas_complex_numIdEPKS1_PKS3_PKPS1_EviiT4_lT5_lllSA_lllT6_lmli
                                        ; -- End function
	.set _ZL18rocblas_ger_kernelILi32ELi32ELi2ELb1E19rocblas_complex_numIdEPKS1_PKS3_PKPS1_EviiT4_lT5_lllSA_lllT6_lmli.num_vgpr, 32
	.set _ZL18rocblas_ger_kernelILi32ELi32ELi2ELb1E19rocblas_complex_numIdEPKS1_PKS3_PKPS1_EviiT4_lT5_lllSA_lllT6_lmli.num_agpr, 0
	.set _ZL18rocblas_ger_kernelILi32ELi32ELi2ELb1E19rocblas_complex_numIdEPKS1_PKS3_PKPS1_EviiT4_lT5_lllSA_lllT6_lmli.numbered_sgpr, 38
	.set _ZL18rocblas_ger_kernelILi32ELi32ELi2ELb1E19rocblas_complex_numIdEPKS1_PKS3_PKPS1_EviiT4_lT5_lllSA_lllT6_lmli.num_named_barrier, 0
	.set _ZL18rocblas_ger_kernelILi32ELi32ELi2ELb1E19rocblas_complex_numIdEPKS1_PKS3_PKPS1_EviiT4_lT5_lllSA_lllT6_lmli.private_seg_size, 0
	.set _ZL18rocblas_ger_kernelILi32ELi32ELi2ELb1E19rocblas_complex_numIdEPKS1_PKS3_PKPS1_EviiT4_lT5_lllSA_lllT6_lmli.uses_vcc, 1
	.set _ZL18rocblas_ger_kernelILi32ELi32ELi2ELb1E19rocblas_complex_numIdEPKS1_PKS3_PKPS1_EviiT4_lT5_lllSA_lllT6_lmli.uses_flat_scratch, 0
	.set _ZL18rocblas_ger_kernelILi32ELi32ELi2ELb1E19rocblas_complex_numIdEPKS1_PKS3_PKPS1_EviiT4_lT5_lllSA_lllT6_lmli.has_dyn_sized_stack, 0
	.set _ZL18rocblas_ger_kernelILi32ELi32ELi2ELb1E19rocblas_complex_numIdEPKS1_PKS3_PKPS1_EviiT4_lT5_lllSA_lllT6_lmli.has_recursion, 0
	.set _ZL18rocblas_ger_kernelILi32ELi32ELi2ELb1E19rocblas_complex_numIdEPKS1_PKS3_PKPS1_EviiT4_lT5_lllSA_lllT6_lmli.has_indirect_call, 0
	.section	.AMDGPU.csdata,"",@progbits
; Kernel info:
; codeLenInByte = 1088
; TotalNumSgprs: 40
; NumVgprs: 32
; ScratchSize: 0
; MemoryBound: 1
; FloatMode: 240
; IeeeMode: 1
; LDSByteSize: 1536 bytes/workgroup (compile time only)
; SGPRBlocks: 0
; VGPRBlocks: 1
; NumSGPRsForWavesPerEU: 40
; NumVGPRsForWavesPerEU: 32
; NamedBarCnt: 0
; Occupancy: 16
; WaveLimiterHint : 1
; COMPUTE_PGM_RSRC2:SCRATCH_EN: 0
; COMPUTE_PGM_RSRC2:USER_SGPR: 2
; COMPUTE_PGM_RSRC2:TRAP_HANDLER: 0
; COMPUTE_PGM_RSRC2:TGID_X_EN: 1
; COMPUTE_PGM_RSRC2:TGID_Y_EN: 0
; COMPUTE_PGM_RSRC2:TGID_Z_EN: 1
; COMPUTE_PGM_RSRC2:TIDIG_COMP_CNT: 1
	.section	.text._ZL18rocblas_ger_kernelILi32ELi32ELi2ELb1E19rocblas_complex_numIdES1_PKPKS1_PKPS1_EviiT4_lT5_lllSA_lllT6_lmli,"axG",@progbits,_ZL18rocblas_ger_kernelILi32ELi32ELi2ELb1E19rocblas_complex_numIdES1_PKPKS1_PKPS1_EviiT4_lT5_lllSA_lllT6_lmli,comdat
	.globl	_ZL18rocblas_ger_kernelILi32ELi32ELi2ELb1E19rocblas_complex_numIdES1_PKPKS1_PKPS1_EviiT4_lT5_lllSA_lllT6_lmli ; -- Begin function _ZL18rocblas_ger_kernelILi32ELi32ELi2ELb1E19rocblas_complex_numIdES1_PKPKS1_PKPS1_EviiT4_lT5_lllSA_lllT6_lmli
	.p2align	8
	.type	_ZL18rocblas_ger_kernelILi32ELi32ELi2ELb1E19rocblas_complex_numIdES1_PKPKS1_PKPS1_EviiT4_lT5_lllSA_lllT6_lmli,@function
_ZL18rocblas_ger_kernelILi32ELi32ELi2ELb1E19rocblas_complex_numIdES1_PKPKS1_PKPS1_EviiT4_lT5_lllSA_lllT6_lmli: ; @_ZL18rocblas_ger_kernelILi32ELi32ELi2ELb1E19rocblas_complex_numIdES1_PKPKS1_PKPS1_EviiT4_lT5_lllSA_lllT6_lmli
; %bb.0:
	s_load_b32 s28, s[0:1], 0x80
	s_bfe_u32 s2, ttmp6, 0x40014
	s_lshr_b32 s3, ttmp7, 16
	s_add_co_i32 s2, s2, 1
	s_bfe_u32 s5, ttmp6, 0x40008
	s_mul_i32 s4, s3, s2
	s_getreg_b32 s2, hwreg(HW_REG_IB_STS2, 6, 4)
	s_add_co_i32 s5, s5, s4
	s_cmp_eq_u32 s2, 0
	s_mov_b32 s7, 0
	s_cselect_b32 s6, s3, s5
	s_wait_kmcnt 0x0
	s_cmp_ge_u32 s6, s28
	s_cbranch_scc1 .LBB67_18
; %bb.1:
	s_clause 0x1
	s_load_b64 s[4:5], s[0:1], 0x0
	s_load_b128 s[8:11], s[0:1], 0x8
	s_bfe_u32 s14, ttmp6, 0x4000c
	s_and_b32 s13, ttmp6, 15
	s_add_co_i32 s14, s14, 1
	v_bfe_u32 v16, v0, 10, 10
	s_mul_i32 s14, ttmp9, s14
	s_load_b128 s[20:23], s[0:1], 0x68
	s_add_co_i32 s16, s13, s14
	v_and_b32_e32 v18, 0x3ff, v0
	v_mov_b32_e32 v3, 0
	s_wait_kmcnt 0x0
	s_add_co_i32 s3, s4, -1
	s_delay_alu instid0(SALU_CYCLE_1) | instskip(NEXT) | instid1(SALU_CYCLE_1)
	s_ashr_i32 s12, s3, 31
	s_lshr_b32 s12, s12, 27
	s_delay_alu instid0(SALU_CYCLE_1) | instskip(NEXT) | instid1(SALU_CYCLE_1)
	s_add_co_i32 s3, s3, s12
	s_ashr_i32 s3, s3, 5
	s_delay_alu instid0(SALU_CYCLE_1) | instskip(SKIP_2) | instid1(SALU_CYCLE_3)
	s_add_co_i32 s24, s3, 1
	s_not_b32 s3, s3
	s_cvt_f32_u32 s12, s24
	v_rcp_iflag_f32_e32 v1, s12
	v_nop
	s_delay_alu instid0(TRANS32_DEP_1) | instskip(SKIP_2) | instid1(SALU_CYCLE_3)
	v_readfirstlane_b32 s12, v1
	v_lshlrev_b32_e32 v1, 1, v16
	s_mul_f32 s12, s12, 0x4f7ffffe
	s_cvt_u32_f32 s12, s12
	s_delay_alu instid0(SALU_CYCLE_3) | instskip(NEXT) | instid1(SALU_CYCLE_1)
	s_mul_i32 s3, s3, s12
	s_mul_hi_u32 s3, s12, s3
	s_delay_alu instid0(SALU_CYCLE_1)
	s_add_co_i32 s3, s12, s3
	s_cmp_eq_u32 s2, 0
	s_load_b128 s[12:15], s[0:1], 0x28
	s_cselect_b32 s2, ttmp9, s16
	s_load_b128 s[16:19], s[0:1], 0x48
	s_mul_hi_u32 s3, s2, s3
	s_delay_alu instid0(SALU_CYCLE_1) | instskip(SKIP_2) | instid1(SALU_CYCLE_1)
	s_mul_i32 s25, s3, s24
	s_add_co_i32 s26, s3, 1
	s_sub_co_i32 s25, s2, s25
	s_sub_co_i32 s27, s25, s24
	s_cmp_ge_u32 s25, s24
	s_cselect_b32 s3, s26, s3
	s_cselect_b32 s25, s27, s25
	s_add_co_i32 s26, s3, 1
	s_cmp_ge_u32 s25, s24
	v_cmp_neq_f64_e64 s25, s[10:11], 0
	s_cselect_b32 s3, s26, s3
	s_lshl_b64 s[20:21], s[20:21], 4
	v_lshl_add_u32 v0, s3, 6, v1
	s_mul_i32 s24, s3, s24
	s_wait_kmcnt 0x0
	s_lshl_b64 s[12:13], s[12:13], 4
	s_sub_co_i32 s2, s2, s24
	v_cmp_neq_f64_e64 s24, s[8:9], 0
	v_lshl_add_u32 v4, s2, 5, v18
	v_dual_ashrrev_i32 v1, 31, v0 :: v_dual_bitop2_b32 v14, 1, v0 bitop3:0x54
	v_or_b32_e32 v2, v0, v18
	v_cmp_gt_u32_e64 s2, 2, v18
	s_delay_alu instid0(VALU_DEP_3) | instskip(NEXT) | instid1(VALU_DEP_4)
	v_dual_ashrrev_i32 v5, 31, v4 :: v_dual_ashrrev_i32 v15, 31, v14
	v_mul_u64_e32 v[10:11], s[22:23], v[0:1]
	s_delay_alu instid0(VALU_DEP_4) | instskip(SKIP_1) | instid1(VALU_DEP_4)
	v_mul_u64_e32 v[6:7], s[18:19], v[2:3]
	v_lshlrev_b32_e32 v1, 4, v18
	v_mul_u64_e32 v[8:9], s[14:15], v[4:5]
	v_mul_u64_e32 v[12:13], s[22:23], v[14:15]
	s_clause 0x2
	s_load_b64 s[14:15], s[0:1], 0x60
	s_load_b64 s[18:19], s[0:1], 0x20
	;; [unrolled: 1-line block ×3, first 2 shown]
	s_wait_xcnt 0x0
	v_cmp_eq_u32_e64 s0, 0, v16
	v_lshlrev_b32_e32 v16, 5, v16
	v_cmp_gt_i32_e64 s1, s4, v4
	v_add_nc_u32_e32 v17, 0x400, v1
	v_cmp_gt_u32_e64 s3, s5, v2
	v_cmp_gt_i32_e64 s4, s5, v0
	v_add_nc_u32_e32 v18, v16, v1
	v_cmp_gt_i32_e64 s5, s5, v14
	s_lshl_b64 s[16:17], s[16:17], 4
	s_or_b32 s29, s24, s25
	s_branch .LBB67_4
.LBB67_2:                               ;   in Loop: Header=BB67_4 Depth=1
	s_wait_xcnt 0x0
	s_or_b32 exec_lo, exec_lo, s26
.LBB67_3:                               ;   in Loop: Header=BB67_4 Depth=1
	s_add_co_i32 s6, s6, 0x10000
	s_delay_alu instid0(SALU_CYCLE_1)
	s_cmp_lt_u32 s6, s28
	s_cbranch_scc0 .LBB67_18
.LBB67_4:                               ; =>This Inner Loop Header: Depth=1
	s_and_not1_b32 vcc_lo, exec_lo, s29
	s_cbranch_vccnz .LBB67_3
; %bb.5:                                ;   in Loop: Header=BB67_4 Depth=1
	s_wait_kmcnt 0x0
	s_load_b64 s[26:27], s[22:23], s6 offset:0x0 scale_offset
	s_load_b64 s[24:25], s[14:15], s6 offset:0x0 scale_offset
	s_and_saveexec_b32 s30, s0
	s_cbranch_execz .LBB67_9
; %bb.6:                                ;   in Loop: Header=BB67_4 Depth=1
	v_mov_b64_e32 v[0:1], 0
	v_mov_b64_e32 v[2:3], 0
	s_and_saveexec_b32 s31, s1
	s_cbranch_execz .LBB67_8
; %bb.7:                                ;   in Loop: Header=BB67_4 Depth=1
	s_lshl_b64 s[34:35], s[6:7], 3
	s_delay_alu instid0(SALU_CYCLE_1) | instskip(SKIP_4) | instid1(SALU_CYCLE_1)
	s_add_nc_u64 s[34:35], s[18:19], s[34:35]
	s_load_b64 s[34:35], s[34:35], 0x0
	s_wait_kmcnt 0x0
	s_wait_xcnt 0x0
	s_add_nc_u64 s[34:35], s[34:35], s[12:13]
	v_lshl_add_u64 v[0:1], v[8:9], 4, s[34:35]
	flat_load_b128 v[0:3], v[0:1]
.LBB67_8:                               ;   in Loop: Header=BB67_4 Depth=1
	s_wait_xcnt 0x0
	s_or_b32 exec_lo, exec_lo, s31
	s_wait_loadcnt_dscnt 0x0
	ds_store_b128 v17, v[0:3]
.LBB67_9:                               ;   in Loop: Header=BB67_4 Depth=1
	s_or_b32 exec_lo, exec_lo, s30
	s_and_saveexec_b32 s30, s2
	s_cbranch_execz .LBB67_13
; %bb.10:                               ;   in Loop: Header=BB67_4 Depth=1
	v_mov_b64_e32 v[0:1], 0
	v_mov_b64_e32 v[2:3], 0
	s_and_saveexec_b32 s31, s3
	s_cbranch_execz .LBB67_12
; %bb.11:                               ;   in Loop: Header=BB67_4 Depth=1
	s_wait_kmcnt 0x0
	s_add_nc_u64 s[26:27], s[26:27], s[16:17]
	s_delay_alu instid0(SALU_CYCLE_1)
	v_lshl_add_u64 v[0:1], v[6:7], 4, s[26:27]
	flat_load_b128 v[0:3], v[0:1]
.LBB67_12:                              ;   in Loop: Header=BB67_4 Depth=1
	s_wait_xcnt 0x0
	s_or_b32 exec_lo, exec_lo, s31
	s_wait_loadcnt_dscnt 0x0
	ds_store_b128 v18, v[0:3]
.LBB67_13:                              ;   in Loop: Header=BB67_4 Depth=1
	s_or_b32 exec_lo, exec_lo, s30
	s_wait_dscnt 0x0
	s_barrier_signal -1
	s_barrier_wait -1
	s_wait_kmcnt 0x0
	s_and_saveexec_b32 s26, s1
	s_cbranch_execz .LBB67_2
; %bb.14:                               ;   in Loop: Header=BB67_4 Depth=1
	ds_load_b128 v[20:23], v17
	s_add_nc_u64 s[24:25], s[24:25], s[20:21]
	s_delay_alu instid0(SALU_CYCLE_1) | instskip(SKIP_3) | instid1(VALU_DEP_2)
	v_lshl_add_u64 v[14:15], v[4:5], 4, s[24:25]
	s_wait_dscnt 0x0
	v_mul_f64_e32 v[2:3], s[10:11], v[22:23]
	v_mul_f64_e32 v[0:1], s[8:9], v[22:23]
	v_fma_f64 v[2:3], s[8:9], v[20:21], -v[2:3]
	s_delay_alu instid0(VALU_DEP_2)
	v_fmac_f64_e32 v[0:1], s[10:11], v[20:21]
	s_and_saveexec_b32 s24, s4
	s_cbranch_execz .LBB67_16
; %bb.15:                               ;   in Loop: Header=BB67_4 Depth=1
	v_lshl_add_u64 v[28:29], v[10:11], 4, v[14:15]
	ds_load_b128 v[24:27], v16
	flat_load_b128 v[20:23], v[28:29]
	s_wait_dscnt 0x1
	v_mul_f64_e32 v[30:31], v[0:1], v[26:27]
	v_mul_f64_e32 v[26:27], v[2:3], v[26:27]
	s_delay_alu instid0(VALU_DEP_2) | instskip(NEXT) | instid1(VALU_DEP_2)
	v_fmac_f64_e32 v[30:31], v[2:3], v[24:25]
	v_fma_f64 v[24:25], v[0:1], v[24:25], -v[26:27]
	s_wait_loadcnt_dscnt 0x0
	s_delay_alu instid0(VALU_DEP_2) | instskip(NEXT) | instid1(VALU_DEP_2)
	v_add_f64_e32 v[20:21], v[20:21], v[30:31]
	v_add_f64_e32 v[22:23], v[24:25], v[22:23]
	flat_store_b128 v[28:29], v[20:23]
.LBB67_16:                              ;   in Loop: Header=BB67_4 Depth=1
	s_wait_xcnt 0x0
	s_or_b32 exec_lo, exec_lo, s24
	s_delay_alu instid0(SALU_CYCLE_1)
	s_and_b32 exec_lo, exec_lo, s5
	s_cbranch_execz .LBB67_2
; %bb.17:                               ;   in Loop: Header=BB67_4 Depth=1
	v_lshl_add_u64 v[14:15], v[12:13], 4, v[14:15]
	ds_load_b128 v[24:27], v16 offset:16
	flat_load_b128 v[20:23], v[14:15]
	s_wait_dscnt 0x1
	v_mul_f64_e32 v[28:29], v[0:1], v[26:27]
	v_mul_f64_e32 v[26:27], v[2:3], v[26:27]
	s_delay_alu instid0(VALU_DEP_2) | instskip(NEXT) | instid1(VALU_DEP_2)
	v_fmac_f64_e32 v[28:29], v[2:3], v[24:25]
	v_fma_f64 v[2:3], v[0:1], v[24:25], -v[26:27]
	s_wait_loadcnt_dscnt 0x0
	s_delay_alu instid0(VALU_DEP_2) | instskip(NEXT) | instid1(VALU_DEP_2)
	v_add_f64_e32 v[0:1], v[20:21], v[28:29]
	v_add_f64_e32 v[2:3], v[2:3], v[22:23]
	flat_store_b128 v[14:15], v[0:3]
	s_branch .LBB67_2
.LBB67_18:
	s_endpgm
	.section	.rodata,"a",@progbits
	.p2align	6, 0x0
	.amdhsa_kernel _ZL18rocblas_ger_kernelILi32ELi32ELi2ELb1E19rocblas_complex_numIdES1_PKPKS1_PKPS1_EviiT4_lT5_lllSA_lllT6_lmli
		.amdhsa_group_segment_fixed_size 1536
		.amdhsa_private_segment_fixed_size 0
		.amdhsa_kernarg_size 132
		.amdhsa_user_sgpr_count 2
		.amdhsa_user_sgpr_dispatch_ptr 0
		.amdhsa_user_sgpr_queue_ptr 0
		.amdhsa_user_sgpr_kernarg_segment_ptr 1
		.amdhsa_user_sgpr_dispatch_id 0
		.amdhsa_user_sgpr_kernarg_preload_length 0
		.amdhsa_user_sgpr_kernarg_preload_offset 0
		.amdhsa_user_sgpr_private_segment_size 0
		.amdhsa_wavefront_size32 1
		.amdhsa_uses_dynamic_stack 0
		.amdhsa_enable_private_segment 0
		.amdhsa_system_sgpr_workgroup_id_x 1
		.amdhsa_system_sgpr_workgroup_id_y 0
		.amdhsa_system_sgpr_workgroup_id_z 1
		.amdhsa_system_sgpr_workgroup_info 0
		.amdhsa_system_vgpr_workitem_id 1
		.amdhsa_next_free_vgpr 32
		.amdhsa_next_free_sgpr 36
		.amdhsa_named_barrier_count 0
		.amdhsa_reserve_vcc 1
		.amdhsa_float_round_mode_32 0
		.amdhsa_float_round_mode_16_64 0
		.amdhsa_float_denorm_mode_32 3
		.amdhsa_float_denorm_mode_16_64 3
		.amdhsa_fp16_overflow 0
		.amdhsa_memory_ordered 1
		.amdhsa_forward_progress 1
		.amdhsa_inst_pref_size 9
		.amdhsa_round_robin_scheduling 0
		.amdhsa_exception_fp_ieee_invalid_op 0
		.amdhsa_exception_fp_denorm_src 0
		.amdhsa_exception_fp_ieee_div_zero 0
		.amdhsa_exception_fp_ieee_overflow 0
		.amdhsa_exception_fp_ieee_underflow 0
		.amdhsa_exception_fp_ieee_inexact 0
		.amdhsa_exception_int_div_zero 0
	.end_amdhsa_kernel
	.section	.text._ZL18rocblas_ger_kernelILi32ELi32ELi2ELb1E19rocblas_complex_numIdES1_PKPKS1_PKPS1_EviiT4_lT5_lllSA_lllT6_lmli,"axG",@progbits,_ZL18rocblas_ger_kernelILi32ELi32ELi2ELb1E19rocblas_complex_numIdES1_PKPKS1_PKPS1_EviiT4_lT5_lllSA_lllT6_lmli,comdat
.Lfunc_end67:
	.size	_ZL18rocblas_ger_kernelILi32ELi32ELi2ELb1E19rocblas_complex_numIdES1_PKPKS1_PKPS1_EviiT4_lT5_lllSA_lllT6_lmli, .Lfunc_end67-_ZL18rocblas_ger_kernelILi32ELi32ELi2ELb1E19rocblas_complex_numIdES1_PKPKS1_PKPS1_EviiT4_lT5_lllSA_lllT6_lmli
                                        ; -- End function
	.set _ZL18rocblas_ger_kernelILi32ELi32ELi2ELb1E19rocblas_complex_numIdES1_PKPKS1_PKPS1_EviiT4_lT5_lllSA_lllT6_lmli.num_vgpr, 32
	.set _ZL18rocblas_ger_kernelILi32ELi32ELi2ELb1E19rocblas_complex_numIdES1_PKPKS1_PKPS1_EviiT4_lT5_lllSA_lllT6_lmli.num_agpr, 0
	.set _ZL18rocblas_ger_kernelILi32ELi32ELi2ELb1E19rocblas_complex_numIdES1_PKPKS1_PKPS1_EviiT4_lT5_lllSA_lllT6_lmli.numbered_sgpr, 36
	.set _ZL18rocblas_ger_kernelILi32ELi32ELi2ELb1E19rocblas_complex_numIdES1_PKPKS1_PKPS1_EviiT4_lT5_lllSA_lllT6_lmli.num_named_barrier, 0
	.set _ZL18rocblas_ger_kernelILi32ELi32ELi2ELb1E19rocblas_complex_numIdES1_PKPKS1_PKPS1_EviiT4_lT5_lllSA_lllT6_lmli.private_seg_size, 0
	.set _ZL18rocblas_ger_kernelILi32ELi32ELi2ELb1E19rocblas_complex_numIdES1_PKPKS1_PKPS1_EviiT4_lT5_lllSA_lllT6_lmli.uses_vcc, 1
	.set _ZL18rocblas_ger_kernelILi32ELi32ELi2ELb1E19rocblas_complex_numIdES1_PKPKS1_PKPS1_EviiT4_lT5_lllSA_lllT6_lmli.uses_flat_scratch, 0
	.set _ZL18rocblas_ger_kernelILi32ELi32ELi2ELb1E19rocblas_complex_numIdES1_PKPKS1_PKPS1_EviiT4_lT5_lllSA_lllT6_lmli.has_dyn_sized_stack, 0
	.set _ZL18rocblas_ger_kernelILi32ELi32ELi2ELb1E19rocblas_complex_numIdES1_PKPKS1_PKPS1_EviiT4_lT5_lllSA_lllT6_lmli.has_recursion, 0
	.set _ZL18rocblas_ger_kernelILi32ELi32ELi2ELb1E19rocblas_complex_numIdES1_PKPKS1_PKPS1_EviiT4_lT5_lllSA_lllT6_lmli.has_indirect_call, 0
	.section	.AMDGPU.csdata,"",@progbits
; Kernel info:
; codeLenInByte = 1044
; TotalNumSgprs: 38
; NumVgprs: 32
; ScratchSize: 0
; MemoryBound: 1
; FloatMode: 240
; IeeeMode: 1
; LDSByteSize: 1536 bytes/workgroup (compile time only)
; SGPRBlocks: 0
; VGPRBlocks: 1
; NumSGPRsForWavesPerEU: 38
; NumVGPRsForWavesPerEU: 32
; NamedBarCnt: 0
; Occupancy: 16
; WaveLimiterHint : 1
; COMPUTE_PGM_RSRC2:SCRATCH_EN: 0
; COMPUTE_PGM_RSRC2:USER_SGPR: 2
; COMPUTE_PGM_RSRC2:TRAP_HANDLER: 0
; COMPUTE_PGM_RSRC2:TGID_X_EN: 1
; COMPUTE_PGM_RSRC2:TGID_Y_EN: 0
; COMPUTE_PGM_RSRC2:TGID_Z_EN: 1
; COMPUTE_PGM_RSRC2:TIDIG_COMP_CNT: 1
	.section	.AMDGPU.gpr_maximums,"",@progbits
	.set amdgpu.max_num_vgpr, 0
	.set amdgpu.max_num_agpr, 0
	.set amdgpu.max_num_sgpr, 0
	.section	.AMDGPU.csdata,"",@progbits
	.type	__hip_cuid_ef9003890f91dcf1,@object ; @__hip_cuid_ef9003890f91dcf1
	.section	.bss,"aw",@nobits
	.globl	__hip_cuid_ef9003890f91dcf1
__hip_cuid_ef9003890f91dcf1:
	.byte	0                               ; 0x0
	.size	__hip_cuid_ef9003890f91dcf1, 1

	.ident	"AMD clang version 22.0.0git (https://github.com/RadeonOpenCompute/llvm-project roc-7.2.4 26084 f58b06dce1f9c15707c5f808fd002e18c2accf7e)"
	.section	".note.GNU-stack","",@progbits
	.addrsig
	.addrsig_sym __hip_cuid_ef9003890f91dcf1
	.amdgpu_metadata
---
amdhsa.kernels:
  - .args:
      - .offset:         0
        .size:           1
        .value_kind:     by_value
      - .offset:         4
        .size:           4
        .value_kind:     by_value
      - .offset:         8
        .size:           4
        .value_kind:     by_value
      - .offset:         16
        .size:           8
        .value_kind:     by_value
      - .offset:         24
        .size:           8
        .value_kind:     by_value
      - .actual_access:  read_only
        .address_space:  global
        .offset:         32
        .size:           8
        .value_kind:     global_buffer
      - .offset:         40
        .size:           8
        .value_kind:     by_value
      - .offset:         48
        .size:           8
        .value_kind:     by_value
      - .offset:         56
        .size:           8
        .value_kind:     by_value
      - .actual_access:  read_only
        .address_space:  global
        .offset:         64
        .size:           8
        .value_kind:     global_buffer
      - .offset:         72
        .size:           8
        .value_kind:     by_value
      - .offset:         80
        .size:           8
        .value_kind:     by_value
      - .offset:         88
        .size:           8
        .value_kind:     by_value
      - .address_space:  global
        .offset:         96
        .size:           8
        .value_kind:     global_buffer
      - .offset:         104
        .size:           8
        .value_kind:     by_value
      - .offset:         112
        .size:           8
        .value_kind:     by_value
      - .offset:         120
        .size:           8
        .value_kind:     by_value
      - .offset:         128
        .size:           4
        .value_kind:     by_value
    .group_segment_fixed_size: 0
    .kernarg_segment_align: 8
    .kernarg_segment_size: 132
    .language:       OpenCL C
    .language_version:
      - 2
      - 0
    .max_flat_workgroup_size: 1024
    .name:           _ZL34rocblas_ger_double_buffered_kernelILb0ELi128ELi8ELi8Ef24rocblas_internal_val_ptrIfEPKfPfEvbiiT4_lT5_lllS6_lllT6_lmli
    .private_segment_fixed_size: 0
    .sgpr_count:     41
    .sgpr_spill_count: 0
    .symbol:         _ZL34rocblas_ger_double_buffered_kernelILb0ELi128ELi8ELi8Ef24rocblas_internal_val_ptrIfEPKfPfEvbiiT4_lT5_lllS6_lllT6_lmli.kd
    .uniform_work_group_size: 1
    .uses_dynamic_stack: false
    .vgpr_count:     64
    .vgpr_spill_count: 0
    .wavefront_size: 32
  - .args:
      - .offset:         0
        .size:           4
        .value_kind:     by_value
      - .offset:         4
        .size:           4
        .value_kind:     by_value
      - .address_space:  global
        .offset:         8
        .size:           8
        .value_kind:     global_buffer
      - .offset:         16
        .size:           8
        .value_kind:     by_value
      - .address_space:  global
        .offset:         24
        .size:           8
        .value_kind:     global_buffer
      - .offset:         32
        .size:           8
        .value_kind:     by_value
      - .offset:         40
        .size:           8
        .value_kind:     by_value
      - .offset:         48
        .size:           8
        .value_kind:     by_value
      - .address_space:  global
        .offset:         56
        .size:           8
        .value_kind:     global_buffer
      - .offset:         64
        .size:           8
        .value_kind:     by_value
      - .offset:         72
        .size:           8
        .value_kind:     by_value
      - .offset:         80
        .size:           8
        .value_kind:     by_value
      - .address_space:  global
        .offset:         88
        .size:           8
        .value_kind:     global_buffer
      - .offset:         96
        .size:           8
        .value_kind:     by_value
      - .offset:         104
        .size:           8
        .value_kind:     by_value
      - .offset:         112
        .size:           8
        .value_kind:     by_value
    .group_segment_fixed_size: 0
    .kernarg_segment_align: 8
    .kernarg_segment_size: 120
    .language:       OpenCL C
    .language_version:
      - 2
      - 0
    .max_flat_workgroup_size: 256
    .name:           _ZL26rocblas_sger_gfx942_kernelILi256EfPKfS1_PfEviiT1_lT2_lllS4_lllT3_lll
    .private_segment_fixed_size: 0
    .sgpr_count:     0
    .sgpr_spill_count: 0
    .symbol:         _ZL26rocblas_sger_gfx942_kernelILi256EfPKfS1_PfEviiT1_lT2_lllS4_lllT3_lll.kd
    .uniform_work_group_size: 1
    .uses_dynamic_stack: false
    .vgpr_count:     0
    .vgpr_spill_count: 0
    .wavefront_size: 32
  - .args:
      - .offset:         0
        .size:           4
        .value_kind:     by_value
      - .offset:         4
        .size:           4
        .value_kind:     by_value
      - .offset:         8
        .size:           4
        .value_kind:     by_value
      - .offset:         16
        .size:           8
        .value_kind:     by_value
      - .address_space:  global
        .offset:         24
        .size:           8
        .value_kind:     global_buffer
      - .offset:         32
        .size:           8
        .value_kind:     by_value
      - .offset:         40
        .size:           8
        .value_kind:     by_value
      - .offset:         48
        .size:           8
        .value_kind:     by_value
      - .address_space:  global
        .offset:         56
        .size:           8
        .value_kind:     global_buffer
      - .offset:         64
        .size:           8
        .value_kind:     by_value
      - .offset:         72
        .size:           8
        .value_kind:     by_value
      - .offset:         80
        .size:           8
        .value_kind:     by_value
      - .address_space:  global
        .offset:         88
        .size:           8
        .value_kind:     global_buffer
      - .offset:         96
        .size:           8
        .value_kind:     by_value
      - .offset:         104
        .size:           8
        .value_kind:     by_value
      - .offset:         112
        .size:           8
        .value_kind:     by_value
    .group_segment_fixed_size: 0
    .kernarg_segment_align: 8
    .kernarg_segment_size: 120
    .language:       OpenCL C
    .language_version:
      - 2
      - 0
    .max_flat_workgroup_size: 256
    .name:           _ZL26rocblas_sger_gfx942_kernelILi256EffPKfPfEviiT1_lT2_lllS4_lllT3_lll
    .private_segment_fixed_size: 0
    .sgpr_count:     0
    .sgpr_spill_count: 0
    .symbol:         _ZL26rocblas_sger_gfx942_kernelILi256EffPKfPfEviiT1_lT2_lllS4_lllT3_lll.kd
    .uniform_work_group_size: 1
    .uses_dynamic_stack: false
    .vgpr_count:     0
    .vgpr_spill_count: 0
    .wavefront_size: 32
  - .args:
      - .offset:         0
        .size:           4
        .value_kind:     by_value
      - .offset:         4
        .size:           4
        .value_kind:     by_value
      - .address_space:  global
        .offset:         8
        .size:           8
        .value_kind:     global_buffer
      - .offset:         16
        .size:           8
        .value_kind:     by_value
      - .actual_access:  read_only
        .address_space:  global
        .offset:         24
        .size:           8
        .value_kind:     global_buffer
      - .offset:         32
        .size:           8
        .value_kind:     by_value
      - .offset:         40
        .size:           8
        .value_kind:     by_value
      - .offset:         48
        .size:           8
        .value_kind:     by_value
      - .actual_access:  read_only
        .address_space:  global
        .offset:         56
        .size:           8
        .value_kind:     global_buffer
      - .offset:         64
        .size:           8
        .value_kind:     by_value
      - .offset:         72
        .size:           8
        .value_kind:     by_value
      - .offset:         80
        .size:           8
        .value_kind:     by_value
      - .address_space:  global
        .offset:         88
        .size:           8
        .value_kind:     global_buffer
      - .offset:         96
        .size:           8
        .value_kind:     by_value
      - .offset:         104
        .size:           8
        .value_kind:     by_value
      - .offset:         112
        .size:           8
        .value_kind:     by_value
      - .offset:         120
        .size:           4
        .value_kind:     by_value
    .group_segment_fixed_size: 0
    .kernarg_segment_align: 8
    .kernarg_segment_size: 124
    .language:       OpenCL C
    .language_version:
      - 2
      - 0
    .max_flat_workgroup_size: 1024
    .name:           _ZL19rocblas_sger_kernelILi1024EfPKfS1_PfEviiT1_lT2_lllS4_lllT3_lmli
    .private_segment_fixed_size: 0
    .sgpr_count:     40
    .sgpr_spill_count: 0
    .symbol:         _ZL19rocblas_sger_kernelILi1024EfPKfS1_PfEviiT1_lT2_lllS4_lllT3_lmli.kd
    .uniform_work_group_size: 1
    .uses_dynamic_stack: false
    .vgpr_count:     26
    .vgpr_spill_count: 0
    .wavefront_size: 32
  - .args:
      - .offset:         0
        .size:           4
        .value_kind:     by_value
      - .offset:         4
        .size:           4
        .value_kind:     by_value
      - .offset:         8
        .size:           4
        .value_kind:     by_value
      - .offset:         16
        .size:           8
        .value_kind:     by_value
      - .actual_access:  read_only
        .address_space:  global
        .offset:         24
        .size:           8
        .value_kind:     global_buffer
      - .offset:         32
        .size:           8
        .value_kind:     by_value
      - .offset:         40
        .size:           8
        .value_kind:     by_value
      - .offset:         48
        .size:           8
        .value_kind:     by_value
      - .actual_access:  read_only
        .address_space:  global
        .offset:         56
        .size:           8
        .value_kind:     global_buffer
      - .offset:         64
        .size:           8
        .value_kind:     by_value
      - .offset:         72
        .size:           8
        .value_kind:     by_value
      - .offset:         80
        .size:           8
        .value_kind:     by_value
      - .address_space:  global
        .offset:         88
        .size:           8
        .value_kind:     global_buffer
      - .offset:         96
        .size:           8
        .value_kind:     by_value
      - .offset:         104
        .size:           8
        .value_kind:     by_value
      - .offset:         112
        .size:           8
        .value_kind:     by_value
      - .offset:         120
        .size:           4
        .value_kind:     by_value
    .group_segment_fixed_size: 0
    .kernarg_segment_align: 8
    .kernarg_segment_size: 124
    .language:       OpenCL C
    .language_version:
      - 2
      - 0
    .max_flat_workgroup_size: 1024
    .name:           _ZL19rocblas_sger_kernelILi1024EffPKfPfEviiT1_lT2_lllS4_lllT3_lmli
    .private_segment_fixed_size: 0
    .sgpr_count:     40
    .sgpr_spill_count: 0
    .symbol:         _ZL19rocblas_sger_kernelILi1024EffPKfPfEviiT1_lT2_lllS4_lllT3_lmli.kd
    .uniform_work_group_size: 1
    .uses_dynamic_stack: false
    .vgpr_count:     26
    .vgpr_spill_count: 0
    .wavefront_size: 32
  - .args:
      - .offset:         0
        .size:           4
        .value_kind:     by_value
      - .offset:         4
        .size:           4
        .value_kind:     by_value
      - .address_space:  global
        .offset:         8
        .size:           8
        .value_kind:     global_buffer
      - .offset:         16
        .size:           8
        .value_kind:     by_value
      - .actual_access:  read_only
        .address_space:  global
        .offset:         24
        .size:           8
        .value_kind:     global_buffer
      - .offset:         32
        .size:           8
        .value_kind:     by_value
      - .offset:         40
        .size:           8
        .value_kind:     by_value
      - .offset:         48
        .size:           8
        .value_kind:     by_value
      - .actual_access:  read_only
        .address_space:  global
        .offset:         56
        .size:           8
        .value_kind:     global_buffer
      - .offset:         64
        .size:           8
        .value_kind:     by_value
      - .offset:         72
        .size:           8
        .value_kind:     by_value
      - .offset:         80
        .size:           8
        .value_kind:     by_value
      - .address_space:  global
        .offset:         88
        .size:           8
        .value_kind:     global_buffer
      - .offset:         96
        .size:           8
        .value_kind:     by_value
      - .offset:         104
        .size:           8
        .value_kind:     by_value
      - .offset:         112
        .size:           8
        .value_kind:     by_value
      - .offset:         120
        .size:           4
        .value_kind:     by_value
    .group_segment_fixed_size: 384
    .kernarg_segment_align: 8
    .kernarg_segment_size: 124
    .language:       OpenCL C
    .language_version:
      - 2
      - 0
    .max_flat_workgroup_size: 1024
    .name:           _ZL18rocblas_ger_kernelILi32ELi32ELi2ELb0EfPKfS1_PfEviiT4_lT5_lllS4_lllT6_lmli
    .private_segment_fixed_size: 0
    .sgpr_count:     40
    .sgpr_spill_count: 0
    .symbol:         _ZL18rocblas_ger_kernelILi32ELi32ELi2ELb0EfPKfS1_PfEviiT4_lT5_lllS4_lllT6_lmli.kd
    .uniform_work_group_size: 1
    .uses_dynamic_stack: false
    .vgpr_count:     21
    .vgpr_spill_count: 0
    .wavefront_size: 32
  - .args:
      - .offset:         0
        .size:           4
        .value_kind:     by_value
      - .offset:         4
        .size:           4
        .value_kind:     by_value
      - .offset:         8
        .size:           4
        .value_kind:     by_value
      - .offset:         16
        .size:           8
        .value_kind:     by_value
      - .actual_access:  read_only
        .address_space:  global
        .offset:         24
        .size:           8
        .value_kind:     global_buffer
      - .offset:         32
        .size:           8
        .value_kind:     by_value
      - .offset:         40
        .size:           8
        .value_kind:     by_value
      - .offset:         48
        .size:           8
        .value_kind:     by_value
      - .actual_access:  read_only
        .address_space:  global
        .offset:         56
        .size:           8
        .value_kind:     global_buffer
      - .offset:         64
        .size:           8
        .value_kind:     by_value
      - .offset:         72
        .size:           8
        .value_kind:     by_value
      - .offset:         80
        .size:           8
        .value_kind:     by_value
      - .address_space:  global
        .offset:         88
        .size:           8
        .value_kind:     global_buffer
      - .offset:         96
        .size:           8
        .value_kind:     by_value
      - .offset:         104
        .size:           8
        .value_kind:     by_value
      - .offset:         112
        .size:           8
        .value_kind:     by_value
      - .offset:         120
        .size:           4
        .value_kind:     by_value
    .group_segment_fixed_size: 384
    .kernarg_segment_align: 8
    .kernarg_segment_size: 124
    .language:       OpenCL C
    .language_version:
      - 2
      - 0
    .max_flat_workgroup_size: 1024
    .name:           _ZL18rocblas_ger_kernelILi32ELi32ELi2ELb0EffPKfPfEviiT4_lT5_lllS4_lllT6_lmli
    .private_segment_fixed_size: 0
    .sgpr_count:     37
    .sgpr_spill_count: 0
    .symbol:         _ZL18rocblas_ger_kernelILi32ELi32ELi2ELb0EffPKfPfEviiT4_lT5_lllS4_lllT6_lmli.kd
    .uniform_work_group_size: 1
    .uses_dynamic_stack: false
    .vgpr_count:     20
    .vgpr_spill_count: 0
    .wavefront_size: 32
  - .args:
      - .offset:         0
        .size:           1
        .value_kind:     by_value
      - .offset:         4
        .size:           4
        .value_kind:     by_value
      - .offset:         8
        .size:           4
        .value_kind:     by_value
      - .offset:         16
        .size:           8
        .value_kind:     by_value
      - .offset:         24
        .size:           8
        .value_kind:     by_value
      - .actual_access:  read_only
        .address_space:  global
        .offset:         32
        .size:           8
        .value_kind:     global_buffer
      - .offset:         40
        .size:           8
        .value_kind:     by_value
      - .offset:         48
        .size:           8
        .value_kind:     by_value
      - .offset:         56
        .size:           8
        .value_kind:     by_value
      - .actual_access:  read_only
        .address_space:  global
        .offset:         64
        .size:           8
        .value_kind:     global_buffer
      - .offset:         72
        .size:           8
        .value_kind:     by_value
      - .offset:         80
        .size:           8
        .value_kind:     by_value
      - .offset:         88
        .size:           8
        .value_kind:     by_value
      - .address_space:  global
        .offset:         96
        .size:           8
        .value_kind:     global_buffer
      - .offset:         104
        .size:           8
        .value_kind:     by_value
      - .offset:         112
        .size:           8
        .value_kind:     by_value
      - .offset:         120
        .size:           8
        .value_kind:     by_value
      - .offset:         128
        .size:           4
        .value_kind:     by_value
    .group_segment_fixed_size: 0
    .kernarg_segment_align: 8
    .kernarg_segment_size: 132
    .language:       OpenCL C
    .language_version:
      - 2
      - 0
    .max_flat_workgroup_size: 1024
    .name:           _ZL34rocblas_ger_double_buffered_kernelILb0ELi64ELi16ELi2Ed24rocblas_internal_val_ptrIdEPKdPdEvbiiT4_lT5_lllS6_lllT6_lmli
    .private_segment_fixed_size: 0
    .sgpr_count:     44
    .sgpr_spill_count: 0
    .symbol:         _ZL34rocblas_ger_double_buffered_kernelILb0ELi64ELi16ELi2Ed24rocblas_internal_val_ptrIdEPKdPdEvbiiT4_lT5_lllS6_lllT6_lmli.kd
    .uniform_work_group_size: 1
    .uses_dynamic_stack: false
    .vgpr_count:     38
    .vgpr_spill_count: 0
    .wavefront_size: 32
  - .args:
      - .offset:         0
        .size:           4
        .value_kind:     by_value
      - .offset:         4
        .size:           4
        .value_kind:     by_value
      - .address_space:  global
        .offset:         8
        .size:           8
        .value_kind:     global_buffer
      - .offset:         16
        .size:           8
        .value_kind:     by_value
      - .address_space:  global
        .offset:         24
        .size:           8
        .value_kind:     global_buffer
      - .offset:         32
        .size:           8
        .value_kind:     by_value
      - .offset:         40
        .size:           8
        .value_kind:     by_value
      - .offset:         48
        .size:           8
        .value_kind:     by_value
      - .address_space:  global
        .offset:         56
        .size:           8
        .value_kind:     global_buffer
      - .offset:         64
        .size:           8
        .value_kind:     by_value
      - .offset:         72
        .size:           8
        .value_kind:     by_value
      - .offset:         80
        .size:           8
        .value_kind:     by_value
      - .address_space:  global
        .offset:         88
        .size:           8
        .value_kind:     global_buffer
      - .offset:         96
        .size:           8
        .value_kind:     by_value
      - .offset:         104
        .size:           8
        .value_kind:     by_value
      - .offset:         112
        .size:           8
        .value_kind:     by_value
    .group_segment_fixed_size: 0
    .kernarg_segment_align: 8
    .kernarg_segment_size: 120
    .language:       OpenCL C
    .language_version:
      - 2
      - 0
    .max_flat_workgroup_size: 256
    .name:           _ZL26rocblas_sger_gfx942_kernelILi256EdPKdS1_PdEviiT1_lT2_lllS4_lllT3_lll
    .private_segment_fixed_size: 0
    .sgpr_count:     0
    .sgpr_spill_count: 0
    .symbol:         _ZL26rocblas_sger_gfx942_kernelILi256EdPKdS1_PdEviiT1_lT2_lllS4_lllT3_lll.kd
    .uniform_work_group_size: 1
    .uses_dynamic_stack: false
    .vgpr_count:     0
    .vgpr_spill_count: 0
    .wavefront_size: 32
  - .args:
      - .offset:         0
        .size:           4
        .value_kind:     by_value
      - .offset:         4
        .size:           4
        .value_kind:     by_value
      - .offset:         8
        .size:           8
        .value_kind:     by_value
      - .offset:         16
        .size:           8
        .value_kind:     by_value
      - .address_space:  global
        .offset:         24
        .size:           8
        .value_kind:     global_buffer
      - .offset:         32
        .size:           8
        .value_kind:     by_value
      - .offset:         40
        .size:           8
        .value_kind:     by_value
      - .offset:         48
        .size:           8
        .value_kind:     by_value
      - .address_space:  global
        .offset:         56
        .size:           8
        .value_kind:     global_buffer
      - .offset:         64
        .size:           8
        .value_kind:     by_value
      - .offset:         72
        .size:           8
        .value_kind:     by_value
      - .offset:         80
        .size:           8
        .value_kind:     by_value
      - .address_space:  global
        .offset:         88
        .size:           8
        .value_kind:     global_buffer
      - .offset:         96
        .size:           8
        .value_kind:     by_value
      - .offset:         104
        .size:           8
        .value_kind:     by_value
      - .offset:         112
        .size:           8
        .value_kind:     by_value
    .group_segment_fixed_size: 0
    .kernarg_segment_align: 8
    .kernarg_segment_size: 120
    .language:       OpenCL C
    .language_version:
      - 2
      - 0
    .max_flat_workgroup_size: 256
    .name:           _ZL26rocblas_sger_gfx942_kernelILi256EddPKdPdEviiT1_lT2_lllS4_lllT3_lll
    .private_segment_fixed_size: 0
    .sgpr_count:     0
    .sgpr_spill_count: 0
    .symbol:         _ZL26rocblas_sger_gfx942_kernelILi256EddPKdPdEviiT1_lT2_lllS4_lllT3_lll.kd
    .uniform_work_group_size: 1
    .uses_dynamic_stack: false
    .vgpr_count:     0
    .vgpr_spill_count: 0
    .wavefront_size: 32
  - .args:
      - .offset:         0
        .size:           4
        .value_kind:     by_value
      - .offset:         4
        .size:           4
        .value_kind:     by_value
      - .address_space:  global
        .offset:         8
        .size:           8
        .value_kind:     global_buffer
      - .offset:         16
        .size:           8
        .value_kind:     by_value
      - .actual_access:  read_only
        .address_space:  global
        .offset:         24
        .size:           8
        .value_kind:     global_buffer
      - .offset:         32
        .size:           8
        .value_kind:     by_value
      - .offset:         40
        .size:           8
        .value_kind:     by_value
      - .offset:         48
        .size:           8
        .value_kind:     by_value
      - .actual_access:  read_only
        .address_space:  global
        .offset:         56
        .size:           8
        .value_kind:     global_buffer
      - .offset:         64
        .size:           8
        .value_kind:     by_value
      - .offset:         72
        .size:           8
        .value_kind:     by_value
      - .offset:         80
        .size:           8
        .value_kind:     by_value
      - .address_space:  global
        .offset:         88
        .size:           8
        .value_kind:     global_buffer
      - .offset:         96
        .size:           8
        .value_kind:     by_value
      - .offset:         104
        .size:           8
        .value_kind:     by_value
      - .offset:         112
        .size:           8
        .value_kind:     by_value
      - .offset:         120
        .size:           4
        .value_kind:     by_value
    .group_segment_fixed_size: 0
    .kernarg_segment_align: 8
    .kernarg_segment_size: 124
    .language:       OpenCL C
    .language_version:
      - 2
      - 0
    .max_flat_workgroup_size: 1024
    .name:           _ZL19rocblas_sger_kernelILi1024EdPKdS1_PdEviiT1_lT2_lllS4_lllT3_lmli
    .private_segment_fixed_size: 0
    .sgpr_count:     40
    .sgpr_spill_count: 0
    .symbol:         _ZL19rocblas_sger_kernelILi1024EdPKdS1_PdEviiT1_lT2_lllS4_lllT3_lmli.kd
    .uniform_work_group_size: 1
    .uses_dynamic_stack: false
    .vgpr_count:     16
    .vgpr_spill_count: 0
    .wavefront_size: 32
  - .args:
      - .offset:         0
        .size:           4
        .value_kind:     by_value
      - .offset:         4
        .size:           4
        .value_kind:     by_value
      - .offset:         8
        .size:           8
        .value_kind:     by_value
      - .offset:         16
        .size:           8
        .value_kind:     by_value
      - .actual_access:  read_only
        .address_space:  global
        .offset:         24
        .size:           8
        .value_kind:     global_buffer
      - .offset:         32
        .size:           8
        .value_kind:     by_value
      - .offset:         40
        .size:           8
        .value_kind:     by_value
      - .offset:         48
        .size:           8
        .value_kind:     by_value
      - .actual_access:  read_only
        .address_space:  global
        .offset:         56
        .size:           8
        .value_kind:     global_buffer
      - .offset:         64
        .size:           8
        .value_kind:     by_value
      - .offset:         72
        .size:           8
        .value_kind:     by_value
      - .offset:         80
        .size:           8
        .value_kind:     by_value
      - .address_space:  global
        .offset:         88
        .size:           8
        .value_kind:     global_buffer
      - .offset:         96
        .size:           8
        .value_kind:     by_value
      - .offset:         104
        .size:           8
        .value_kind:     by_value
      - .offset:         112
        .size:           8
        .value_kind:     by_value
      - .offset:         120
        .size:           4
        .value_kind:     by_value
    .group_segment_fixed_size: 0
    .kernarg_segment_align: 8
    .kernarg_segment_size: 124
    .language:       OpenCL C
    .language_version:
      - 2
      - 0
    .max_flat_workgroup_size: 1024
    .name:           _ZL19rocblas_sger_kernelILi1024EddPKdPdEviiT1_lT2_lllS4_lllT3_lmli
    .private_segment_fixed_size: 0
    .sgpr_count:     38
    .sgpr_spill_count: 0
    .symbol:         _ZL19rocblas_sger_kernelILi1024EddPKdPdEviiT1_lT2_lllS4_lllT3_lmli.kd
    .uniform_work_group_size: 1
    .uses_dynamic_stack: false
    .vgpr_count:     16
    .vgpr_spill_count: 0
    .wavefront_size: 32
  - .args:
      - .offset:         0
        .size:           4
        .value_kind:     by_value
      - .offset:         4
        .size:           4
        .value_kind:     by_value
      - .address_space:  global
        .offset:         8
        .size:           8
        .value_kind:     global_buffer
      - .offset:         16
        .size:           8
        .value_kind:     by_value
      - .actual_access:  read_only
        .address_space:  global
        .offset:         24
        .size:           8
        .value_kind:     global_buffer
      - .offset:         32
        .size:           8
        .value_kind:     by_value
      - .offset:         40
        .size:           8
        .value_kind:     by_value
      - .offset:         48
        .size:           8
        .value_kind:     by_value
      - .actual_access:  read_only
        .address_space:  global
        .offset:         56
        .size:           8
        .value_kind:     global_buffer
      - .offset:         64
        .size:           8
        .value_kind:     by_value
      - .offset:         72
        .size:           8
        .value_kind:     by_value
      - .offset:         80
        .size:           8
        .value_kind:     by_value
      - .address_space:  global
        .offset:         88
        .size:           8
        .value_kind:     global_buffer
      - .offset:         96
        .size:           8
        .value_kind:     by_value
      - .offset:         104
        .size:           8
        .value_kind:     by_value
      - .offset:         112
        .size:           8
        .value_kind:     by_value
      - .offset:         120
        .size:           4
        .value_kind:     by_value
    .group_segment_fixed_size: 768
    .kernarg_segment_align: 8
    .kernarg_segment_size: 124
    .language:       OpenCL C
    .language_version:
      - 2
      - 0
    .max_flat_workgroup_size: 1024
    .name:           _ZL18rocblas_ger_kernelILi32ELi32ELi2ELb0EdPKdS1_PdEviiT4_lT5_lllS4_lllT6_lmli
    .private_segment_fixed_size: 0
    .sgpr_count:     40
    .sgpr_spill_count: 0
    .symbol:         _ZL18rocblas_ger_kernelILi32ELi32ELi2ELb0EdPKdS1_PdEviiT4_lT5_lllS4_lllT6_lmli.kd
    .uniform_work_group_size: 1
    .uses_dynamic_stack: false
    .vgpr_count:     26
    .vgpr_spill_count: 0
    .wavefront_size: 32
  - .args:
      - .offset:         0
        .size:           4
        .value_kind:     by_value
      - .offset:         4
        .size:           4
        .value_kind:     by_value
      - .offset:         8
        .size:           8
        .value_kind:     by_value
      - .offset:         16
        .size:           8
        .value_kind:     by_value
      - .actual_access:  read_only
        .address_space:  global
        .offset:         24
        .size:           8
        .value_kind:     global_buffer
      - .offset:         32
        .size:           8
        .value_kind:     by_value
      - .offset:         40
        .size:           8
        .value_kind:     by_value
      - .offset:         48
        .size:           8
        .value_kind:     by_value
      - .actual_access:  read_only
        .address_space:  global
        .offset:         56
        .size:           8
        .value_kind:     global_buffer
      - .offset:         64
        .size:           8
        .value_kind:     by_value
      - .offset:         72
        .size:           8
        .value_kind:     by_value
      - .offset:         80
        .size:           8
        .value_kind:     by_value
      - .address_space:  global
        .offset:         88
        .size:           8
        .value_kind:     global_buffer
      - .offset:         96
        .size:           8
        .value_kind:     by_value
      - .offset:         104
        .size:           8
        .value_kind:     by_value
      - .offset:         112
        .size:           8
        .value_kind:     by_value
      - .offset:         120
        .size:           4
        .value_kind:     by_value
    .group_segment_fixed_size: 768
    .kernarg_segment_align: 8
    .kernarg_segment_size: 124
    .language:       OpenCL C
    .language_version:
      - 2
      - 0
    .max_flat_workgroup_size: 1024
    .name:           _ZL18rocblas_ger_kernelILi32ELi32ELi2ELb0EddPKdPdEviiT4_lT5_lllS4_lllT6_lmli
    .private_segment_fixed_size: 0
    .sgpr_count:     38
    .sgpr_spill_count: 0
    .symbol:         _ZL18rocblas_ger_kernelILi32ELi32ELi2ELb0EddPKdPdEviiT4_lT5_lllS4_lllT6_lmli.kd
    .uniform_work_group_size: 1
    .uses_dynamic_stack: false
    .vgpr_count:     24
    .vgpr_spill_count: 0
    .wavefront_size: 32
  - .args:
      - .offset:         0
        .size:           1
        .value_kind:     by_value
      - .offset:         4
        .size:           4
        .value_kind:     by_value
      - .offset:         8
        .size:           4
        .value_kind:     by_value
      - .offset:         16
        .size:           8
        .value_kind:     by_value
      - .offset:         24
        .size:           8
        .value_kind:     by_value
      - .actual_access:  read_only
        .address_space:  global
        .offset:         32
        .size:           8
        .value_kind:     global_buffer
      - .offset:         40
        .size:           8
        .value_kind:     by_value
      - .offset:         48
        .size:           8
        .value_kind:     by_value
      - .offset:         56
        .size:           8
        .value_kind:     by_value
      - .actual_access:  read_only
        .address_space:  global
        .offset:         64
        .size:           8
        .value_kind:     global_buffer
      - .offset:         72
        .size:           8
        .value_kind:     by_value
      - .offset:         80
        .size:           8
        .value_kind:     by_value
      - .offset:         88
        .size:           8
        .value_kind:     by_value
      - .address_space:  global
        .offset:         96
        .size:           8
        .value_kind:     global_buffer
      - .offset:         104
        .size:           8
        .value_kind:     by_value
      - .offset:         112
        .size:           8
        .value_kind:     by_value
      - .offset:         120
        .size:           8
        .value_kind:     by_value
      - .offset:         128
        .size:           4
        .value_kind:     by_value
    .group_segment_fixed_size: 0
    .kernarg_segment_align: 8
    .kernarg_segment_size: 132
    .language:       OpenCL C
    .language_version:
      - 2
      - 0
    .max_flat_workgroup_size: 1024
    .name:           _ZL34rocblas_ger_double_buffered_kernelILb0ELi64ELi16ELi2E19rocblas_complex_numIfE24rocblas_internal_val_ptrIS1_EPKS1_PS1_EvbiiT4_lT5_lllS8_lllT6_lmli
    .private_segment_fixed_size: 0
    .sgpr_count:     43
    .sgpr_spill_count: 0
    .symbol:         _ZL34rocblas_ger_double_buffered_kernelILb0ELi64ELi16ELi2E19rocblas_complex_numIfE24rocblas_internal_val_ptrIS1_EPKS1_PS1_EvbiiT4_lT5_lllS8_lllT6_lmli.kd
    .uniform_work_group_size: 1
    .uses_dynamic_stack: false
    .vgpr_count:     44
    .vgpr_spill_count: 0
    .wavefront_size: 32
  - .args:
      - .offset:         0
        .size:           4
        .value_kind:     by_value
      - .offset:         4
        .size:           4
        .value_kind:     by_value
      - .address_space:  global
        .offset:         8
        .size:           8
        .value_kind:     global_buffer
      - .offset:         16
        .size:           8
        .value_kind:     by_value
      - .address_space:  global
        .offset:         24
        .size:           8
        .value_kind:     global_buffer
      - .offset:         32
        .size:           8
        .value_kind:     by_value
      - .offset:         40
        .size:           8
        .value_kind:     by_value
      - .offset:         48
        .size:           8
        .value_kind:     by_value
      - .address_space:  global
        .offset:         56
        .size:           8
        .value_kind:     global_buffer
      - .offset:         64
        .size:           8
        .value_kind:     by_value
      - .offset:         72
        .size:           8
        .value_kind:     by_value
      - .offset:         80
        .size:           8
        .value_kind:     by_value
      - .address_space:  global
        .offset:         88
        .size:           8
        .value_kind:     global_buffer
      - .offset:         96
        .size:           8
        .value_kind:     by_value
      - .offset:         104
        .size:           8
        .value_kind:     by_value
      - .offset:         112
        .size:           8
        .value_kind:     by_value
    .group_segment_fixed_size: 0
    .kernarg_segment_align: 8
    .kernarg_segment_size: 120
    .language:       OpenCL C
    .language_version:
      - 2
      - 0
    .max_flat_workgroup_size: 256
    .name:           _ZL26rocblas_sger_gfx942_kernelILi256E19rocblas_complex_numIfEPKS1_S3_PS1_EviiT1_lT2_lllS6_lllT3_lll
    .private_segment_fixed_size: 0
    .sgpr_count:     0
    .sgpr_spill_count: 0
    .symbol:         _ZL26rocblas_sger_gfx942_kernelILi256E19rocblas_complex_numIfEPKS1_S3_PS1_EviiT1_lT2_lllS6_lllT3_lll.kd
    .uniform_work_group_size: 1
    .uses_dynamic_stack: false
    .vgpr_count:     0
    .vgpr_spill_count: 0
    .wavefront_size: 32
  - .args:
      - .offset:         0
        .size:           4
        .value_kind:     by_value
      - .offset:         4
        .size:           4
        .value_kind:     by_value
      - .offset:         8
        .size:           8
        .value_kind:     by_value
      - .offset:         16
        .size:           8
        .value_kind:     by_value
      - .address_space:  global
        .offset:         24
        .size:           8
        .value_kind:     global_buffer
      - .offset:         32
        .size:           8
        .value_kind:     by_value
      - .offset:         40
        .size:           8
        .value_kind:     by_value
      - .offset:         48
        .size:           8
        .value_kind:     by_value
      - .address_space:  global
        .offset:         56
        .size:           8
        .value_kind:     global_buffer
      - .offset:         64
        .size:           8
        .value_kind:     by_value
      - .offset:         72
        .size:           8
        .value_kind:     by_value
      - .offset:         80
        .size:           8
        .value_kind:     by_value
      - .address_space:  global
        .offset:         88
        .size:           8
        .value_kind:     global_buffer
      - .offset:         96
        .size:           8
        .value_kind:     by_value
      - .offset:         104
        .size:           8
        .value_kind:     by_value
      - .offset:         112
        .size:           8
        .value_kind:     by_value
    .group_segment_fixed_size: 0
    .kernarg_segment_align: 8
    .kernarg_segment_size: 120
    .language:       OpenCL C
    .language_version:
      - 2
      - 0
    .max_flat_workgroup_size: 256
    .name:           _ZL26rocblas_sger_gfx942_kernelILi256E19rocblas_complex_numIfES1_PKS1_PS1_EviiT1_lT2_lllS6_lllT3_lll
    .private_segment_fixed_size: 0
    .sgpr_count:     0
    .sgpr_spill_count: 0
    .symbol:         _ZL26rocblas_sger_gfx942_kernelILi256E19rocblas_complex_numIfES1_PKS1_PS1_EviiT1_lT2_lllS6_lllT3_lll.kd
    .uniform_work_group_size: 1
    .uses_dynamic_stack: false
    .vgpr_count:     0
    .vgpr_spill_count: 0
    .wavefront_size: 32
  - .args:
      - .offset:         0
        .size:           4
        .value_kind:     by_value
      - .offset:         4
        .size:           4
        .value_kind:     by_value
      - .address_space:  global
        .offset:         8
        .size:           8
        .value_kind:     global_buffer
      - .offset:         16
        .size:           8
        .value_kind:     by_value
      - .actual_access:  read_only
        .address_space:  global
        .offset:         24
        .size:           8
        .value_kind:     global_buffer
      - .offset:         32
        .size:           8
        .value_kind:     by_value
      - .offset:         40
        .size:           8
        .value_kind:     by_value
      - .offset:         48
        .size:           8
        .value_kind:     by_value
      - .actual_access:  read_only
        .address_space:  global
        .offset:         56
        .size:           8
        .value_kind:     global_buffer
      - .offset:         64
        .size:           8
        .value_kind:     by_value
      - .offset:         72
        .size:           8
        .value_kind:     by_value
      - .offset:         80
        .size:           8
        .value_kind:     by_value
      - .address_space:  global
        .offset:         88
        .size:           8
        .value_kind:     global_buffer
      - .offset:         96
        .size:           8
        .value_kind:     by_value
      - .offset:         104
        .size:           8
        .value_kind:     by_value
      - .offset:         112
        .size:           8
        .value_kind:     by_value
      - .offset:         120
        .size:           4
        .value_kind:     by_value
    .group_segment_fixed_size: 0
    .kernarg_segment_align: 8
    .kernarg_segment_size: 124
    .language:       OpenCL C
    .language_version:
      - 2
      - 0
    .max_flat_workgroup_size: 1024
    .name:           _ZL19rocblas_sger_kernelILi1024E19rocblas_complex_numIfEPKS1_S3_PS1_EviiT1_lT2_lllS6_lllT3_lmli
    .private_segment_fixed_size: 0
    .sgpr_count:     44
    .sgpr_spill_count: 0
    .symbol:         _ZL19rocblas_sger_kernelILi1024E19rocblas_complex_numIfEPKS1_S3_PS1_EviiT1_lT2_lllS6_lllT3_lmli.kd
    .uniform_work_group_size: 1
    .uses_dynamic_stack: false
    .vgpr_count:     34
    .vgpr_spill_count: 0
    .wavefront_size: 32
  - .args:
      - .offset:         0
        .size:           4
        .value_kind:     by_value
      - .offset:         4
        .size:           4
        .value_kind:     by_value
      - .offset:         8
        .size:           8
        .value_kind:     by_value
      - .offset:         16
        .size:           8
        .value_kind:     by_value
      - .actual_access:  read_only
        .address_space:  global
        .offset:         24
        .size:           8
        .value_kind:     global_buffer
      - .offset:         32
        .size:           8
        .value_kind:     by_value
      - .offset:         40
        .size:           8
        .value_kind:     by_value
      - .offset:         48
        .size:           8
        .value_kind:     by_value
      - .actual_access:  read_only
        .address_space:  global
        .offset:         56
        .size:           8
        .value_kind:     global_buffer
      - .offset:         64
        .size:           8
        .value_kind:     by_value
      - .offset:         72
        .size:           8
        .value_kind:     by_value
      - .offset:         80
        .size:           8
        .value_kind:     by_value
      - .address_space:  global
        .offset:         88
        .size:           8
        .value_kind:     global_buffer
      - .offset:         96
        .size:           8
        .value_kind:     by_value
      - .offset:         104
        .size:           8
        .value_kind:     by_value
      - .offset:         112
        .size:           8
        .value_kind:     by_value
      - .offset:         120
        .size:           4
        .value_kind:     by_value
    .group_segment_fixed_size: 0
    .kernarg_segment_align: 8
    .kernarg_segment_size: 124
    .language:       OpenCL C
    .language_version:
      - 2
      - 0
    .max_flat_workgroup_size: 1024
    .name:           _ZL19rocblas_sger_kernelILi1024E19rocblas_complex_numIfES1_PKS1_PS1_EviiT1_lT2_lllS6_lllT3_lmli
    .private_segment_fixed_size: 0
    .sgpr_count:     42
    .sgpr_spill_count: 0
    .symbol:         _ZL19rocblas_sger_kernelILi1024E19rocblas_complex_numIfES1_PKS1_PS1_EviiT1_lT2_lllS6_lllT3_lmli.kd
    .uniform_work_group_size: 1
    .uses_dynamic_stack: false
    .vgpr_count:     34
    .vgpr_spill_count: 0
    .wavefront_size: 32
  - .args:
      - .offset:         0
        .size:           4
        .value_kind:     by_value
      - .offset:         4
        .size:           4
        .value_kind:     by_value
      - .address_space:  global
        .offset:         8
        .size:           8
        .value_kind:     global_buffer
      - .offset:         16
        .size:           8
        .value_kind:     by_value
      - .actual_access:  read_only
        .address_space:  global
        .offset:         24
        .size:           8
        .value_kind:     global_buffer
      - .offset:         32
        .size:           8
        .value_kind:     by_value
      - .offset:         40
        .size:           8
        .value_kind:     by_value
      - .offset:         48
        .size:           8
        .value_kind:     by_value
      - .actual_access:  read_only
        .address_space:  global
        .offset:         56
        .size:           8
        .value_kind:     global_buffer
      - .offset:         64
        .size:           8
        .value_kind:     by_value
      - .offset:         72
        .size:           8
        .value_kind:     by_value
      - .offset:         80
        .size:           8
        .value_kind:     by_value
      - .address_space:  global
        .offset:         88
        .size:           8
        .value_kind:     global_buffer
      - .offset:         96
        .size:           8
        .value_kind:     by_value
      - .offset:         104
        .size:           8
        .value_kind:     by_value
      - .offset:         112
        .size:           8
        .value_kind:     by_value
      - .offset:         120
        .size:           4
        .value_kind:     by_value
    .group_segment_fixed_size: 768
    .kernarg_segment_align: 8
    .kernarg_segment_size: 124
    .language:       OpenCL C
    .language_version:
      - 2
      - 0
    .max_flat_workgroup_size: 1024
    .name:           _ZL18rocblas_ger_kernelILi32ELi32ELi2ELb0E19rocblas_complex_numIfEPKS1_S3_PS1_EviiT4_lT5_lllS6_lllT6_lmli
    .private_segment_fixed_size: 0
    .sgpr_count:     40
    .sgpr_spill_count: 0
    .symbol:         _ZL18rocblas_ger_kernelILi32ELi32ELi2ELb0E19rocblas_complex_numIfEPKS1_S3_PS1_EviiT4_lT5_lllS6_lllT6_lmli.kd
    .uniform_work_group_size: 1
    .uses_dynamic_stack: false
    .vgpr_count:     30
    .vgpr_spill_count: 0
    .wavefront_size: 32
  - .args:
      - .offset:         0
        .size:           4
        .value_kind:     by_value
      - .offset:         4
        .size:           4
        .value_kind:     by_value
      - .offset:         8
        .size:           8
        .value_kind:     by_value
      - .offset:         16
        .size:           8
        .value_kind:     by_value
      - .actual_access:  read_only
        .address_space:  global
        .offset:         24
        .size:           8
        .value_kind:     global_buffer
      - .offset:         32
        .size:           8
        .value_kind:     by_value
      - .offset:         40
        .size:           8
        .value_kind:     by_value
      - .offset:         48
        .size:           8
        .value_kind:     by_value
      - .actual_access:  read_only
        .address_space:  global
        .offset:         56
        .size:           8
        .value_kind:     global_buffer
      - .offset:         64
        .size:           8
        .value_kind:     by_value
      - .offset:         72
        .size:           8
        .value_kind:     by_value
      - .offset:         80
        .size:           8
        .value_kind:     by_value
      - .address_space:  global
        .offset:         88
        .size:           8
        .value_kind:     global_buffer
      - .offset:         96
        .size:           8
        .value_kind:     by_value
      - .offset:         104
        .size:           8
        .value_kind:     by_value
      - .offset:         112
        .size:           8
        .value_kind:     by_value
      - .offset:         120
        .size:           4
        .value_kind:     by_value
    .group_segment_fixed_size: 768
    .kernarg_segment_align: 8
    .kernarg_segment_size: 124
    .language:       OpenCL C
    .language_version:
      - 2
      - 0
    .max_flat_workgroup_size: 1024
    .name:           _ZL18rocblas_ger_kernelILi32ELi32ELi2ELb0E19rocblas_complex_numIfES1_PKS1_PS1_EviiT4_lT5_lllS6_lllT6_lmli
    .private_segment_fixed_size: 0
    .sgpr_count:     38
    .sgpr_spill_count: 0
    .symbol:         _ZL18rocblas_ger_kernelILi32ELi32ELi2ELb0E19rocblas_complex_numIfES1_PKS1_PS1_EviiT4_lT5_lllS6_lllT6_lmli.kd
    .uniform_work_group_size: 1
    .uses_dynamic_stack: false
    .vgpr_count:     28
    .vgpr_spill_count: 0
    .wavefront_size: 32
  - .args:
      - .offset:         0
        .size:           1
        .value_kind:     by_value
      - .offset:         4
        .size:           4
        .value_kind:     by_value
      - .offset:         8
        .size:           4
        .value_kind:     by_value
      - .offset:         16
        .size:           16
        .value_kind:     by_value
      - .offset:         32
        .size:           8
        .value_kind:     by_value
      - .actual_access:  read_only
        .address_space:  global
        .offset:         40
        .size:           8
        .value_kind:     global_buffer
      - .offset:         48
        .size:           8
        .value_kind:     by_value
      - .offset:         56
        .size:           8
        .value_kind:     by_value
      - .offset:         64
        .size:           8
        .value_kind:     by_value
      - .actual_access:  read_only
        .address_space:  global
        .offset:         72
        .size:           8
        .value_kind:     global_buffer
      - .offset:         80
        .size:           8
        .value_kind:     by_value
      - .offset:         88
        .size:           8
        .value_kind:     by_value
      - .offset:         96
        .size:           8
        .value_kind:     by_value
      - .address_space:  global
        .offset:         104
        .size:           8
        .value_kind:     global_buffer
      - .offset:         112
        .size:           8
        .value_kind:     by_value
      - .offset:         120
        .size:           8
        .value_kind:     by_value
      - .offset:         128
        .size:           8
        .value_kind:     by_value
      - .offset:         136
        .size:           4
        .value_kind:     by_value
    .group_segment_fixed_size: 0
    .kernarg_segment_align: 8
    .kernarg_segment_size: 140
    .language:       OpenCL C
    .language_version:
      - 2
      - 0
    .max_flat_workgroup_size: 1024
    .name:           _ZL34rocblas_ger_double_buffered_kernelILb0ELi64ELi16ELi2E19rocblas_complex_numIdE24rocblas_internal_val_ptrIS1_EPKS1_PS1_EvbiiT4_lT5_lllS8_lllT6_lmli
    .private_segment_fixed_size: 0
    .sgpr_count:     45
    .sgpr_spill_count: 0
    .symbol:         _ZL34rocblas_ger_double_buffered_kernelILb0ELi64ELi16ELi2E19rocblas_complex_numIdE24rocblas_internal_val_ptrIS1_EPKS1_PS1_EvbiiT4_lT5_lllS8_lllT6_lmli.kd
    .uniform_work_group_size: 1
    .uses_dynamic_stack: false
    .vgpr_count:     58
    .vgpr_spill_count: 0
    .wavefront_size: 32
  - .args:
      - .offset:         0
        .size:           4
        .value_kind:     by_value
      - .offset:         4
        .size:           4
        .value_kind:     by_value
      - .address_space:  global
        .offset:         8
        .size:           8
        .value_kind:     global_buffer
      - .offset:         16
        .size:           8
        .value_kind:     by_value
      - .address_space:  global
        .offset:         24
        .size:           8
        .value_kind:     global_buffer
      - .offset:         32
        .size:           8
        .value_kind:     by_value
      - .offset:         40
        .size:           8
        .value_kind:     by_value
      - .offset:         48
        .size:           8
        .value_kind:     by_value
      - .address_space:  global
        .offset:         56
        .size:           8
        .value_kind:     global_buffer
      - .offset:         64
        .size:           8
        .value_kind:     by_value
      - .offset:         72
        .size:           8
        .value_kind:     by_value
      - .offset:         80
        .size:           8
        .value_kind:     by_value
      - .address_space:  global
        .offset:         88
        .size:           8
        .value_kind:     global_buffer
      - .offset:         96
        .size:           8
        .value_kind:     by_value
      - .offset:         104
        .size:           8
        .value_kind:     by_value
      - .offset:         112
        .size:           8
        .value_kind:     by_value
    .group_segment_fixed_size: 0
    .kernarg_segment_align: 8
    .kernarg_segment_size: 120
    .language:       OpenCL C
    .language_version:
      - 2
      - 0
    .max_flat_workgroup_size: 256
    .name:           _ZL26rocblas_sger_gfx942_kernelILi256E19rocblas_complex_numIdEPKS1_S3_PS1_EviiT1_lT2_lllS6_lllT3_lll
    .private_segment_fixed_size: 0
    .sgpr_count:     0
    .sgpr_spill_count: 0
    .symbol:         _ZL26rocblas_sger_gfx942_kernelILi256E19rocblas_complex_numIdEPKS1_S3_PS1_EviiT1_lT2_lllS6_lllT3_lll.kd
    .uniform_work_group_size: 1
    .uses_dynamic_stack: false
    .vgpr_count:     0
    .vgpr_spill_count: 0
    .wavefront_size: 32
  - .args:
      - .offset:         0
        .size:           4
        .value_kind:     by_value
      - .offset:         4
        .size:           4
        .value_kind:     by_value
      - .offset:         8
        .size:           16
        .value_kind:     by_value
      - .offset:         24
        .size:           8
        .value_kind:     by_value
      - .address_space:  global
        .offset:         32
        .size:           8
        .value_kind:     global_buffer
      - .offset:         40
        .size:           8
        .value_kind:     by_value
      - .offset:         48
        .size:           8
        .value_kind:     by_value
      - .offset:         56
        .size:           8
        .value_kind:     by_value
      - .address_space:  global
        .offset:         64
        .size:           8
        .value_kind:     global_buffer
      - .offset:         72
        .size:           8
        .value_kind:     by_value
      - .offset:         80
        .size:           8
        .value_kind:     by_value
      - .offset:         88
        .size:           8
        .value_kind:     by_value
      - .address_space:  global
        .offset:         96
        .size:           8
        .value_kind:     global_buffer
      - .offset:         104
        .size:           8
        .value_kind:     by_value
      - .offset:         112
        .size:           8
        .value_kind:     by_value
      - .offset:         120
        .size:           8
        .value_kind:     by_value
    .group_segment_fixed_size: 0
    .kernarg_segment_align: 8
    .kernarg_segment_size: 128
    .language:       OpenCL C
    .language_version:
      - 2
      - 0
    .max_flat_workgroup_size: 256
    .name:           _ZL26rocblas_sger_gfx942_kernelILi256E19rocblas_complex_numIdES1_PKS1_PS1_EviiT1_lT2_lllS6_lllT3_lll
    .private_segment_fixed_size: 0
    .sgpr_count:     0
    .sgpr_spill_count: 0
    .symbol:         _ZL26rocblas_sger_gfx942_kernelILi256E19rocblas_complex_numIdES1_PKS1_PS1_EviiT1_lT2_lllS6_lllT3_lll.kd
    .uniform_work_group_size: 1
    .uses_dynamic_stack: false
    .vgpr_count:     0
    .vgpr_spill_count: 0
    .wavefront_size: 32
  - .args:
      - .offset:         0
        .size:           4
        .value_kind:     by_value
      - .offset:         4
        .size:           4
        .value_kind:     by_value
      - .address_space:  global
        .offset:         8
        .size:           8
        .value_kind:     global_buffer
      - .offset:         16
        .size:           8
        .value_kind:     by_value
      - .actual_access:  read_only
        .address_space:  global
        .offset:         24
        .size:           8
        .value_kind:     global_buffer
      - .offset:         32
        .size:           8
        .value_kind:     by_value
      - .offset:         40
        .size:           8
        .value_kind:     by_value
      - .offset:         48
        .size:           8
        .value_kind:     by_value
      - .actual_access:  read_only
        .address_space:  global
        .offset:         56
        .size:           8
        .value_kind:     global_buffer
      - .offset:         64
        .size:           8
        .value_kind:     by_value
      - .offset:         72
        .size:           8
        .value_kind:     by_value
      - .offset:         80
        .size:           8
        .value_kind:     by_value
      - .address_space:  global
        .offset:         88
        .size:           8
        .value_kind:     global_buffer
      - .offset:         96
        .size:           8
        .value_kind:     by_value
      - .offset:         104
        .size:           8
        .value_kind:     by_value
      - .offset:         112
        .size:           8
        .value_kind:     by_value
      - .offset:         120
        .size:           4
        .value_kind:     by_value
    .group_segment_fixed_size: 0
    .kernarg_segment_align: 8
    .kernarg_segment_size: 124
    .language:       OpenCL C
    .language_version:
      - 2
      - 0
    .max_flat_workgroup_size: 1024
    .name:           _ZL19rocblas_sger_kernelILi1024E19rocblas_complex_numIdEPKS1_S3_PS1_EviiT1_lT2_lllS6_lllT3_lmli
    .private_segment_fixed_size: 0
    .sgpr_count:     40
    .sgpr_spill_count: 0
    .symbol:         _ZL19rocblas_sger_kernelILi1024E19rocblas_complex_numIdEPKS1_S3_PS1_EviiT1_lT2_lllS6_lllT3_lmli.kd
    .uniform_work_group_size: 1
    .uses_dynamic_stack: false
    .vgpr_count:     24
    .vgpr_spill_count: 0
    .wavefront_size: 32
  - .args:
      - .offset:         0
        .size:           4
        .value_kind:     by_value
      - .offset:         4
        .size:           4
        .value_kind:     by_value
      - .offset:         8
        .size:           16
        .value_kind:     by_value
      - .offset:         24
        .size:           8
        .value_kind:     by_value
      - .actual_access:  read_only
        .address_space:  global
        .offset:         32
        .size:           8
        .value_kind:     global_buffer
      - .offset:         40
        .size:           8
        .value_kind:     by_value
      - .offset:         48
        .size:           8
        .value_kind:     by_value
      - .offset:         56
        .size:           8
        .value_kind:     by_value
      - .actual_access:  read_only
        .address_space:  global
        .offset:         64
        .size:           8
        .value_kind:     global_buffer
      - .offset:         72
        .size:           8
        .value_kind:     by_value
      - .offset:         80
        .size:           8
        .value_kind:     by_value
      - .offset:         88
        .size:           8
        .value_kind:     by_value
      - .address_space:  global
        .offset:         96
        .size:           8
        .value_kind:     global_buffer
      - .offset:         104
        .size:           8
        .value_kind:     by_value
      - .offset:         112
        .size:           8
        .value_kind:     by_value
      - .offset:         120
        .size:           8
        .value_kind:     by_value
      - .offset:         128
        .size:           4
        .value_kind:     by_value
    .group_segment_fixed_size: 0
    .kernarg_segment_align: 8
    .kernarg_segment_size: 132
    .language:       OpenCL C
    .language_version:
      - 2
      - 0
    .max_flat_workgroup_size: 1024
    .name:           _ZL19rocblas_sger_kernelILi1024E19rocblas_complex_numIdES1_PKS1_PS1_EviiT1_lT2_lllS6_lllT3_lmli
    .private_segment_fixed_size: 0
    .sgpr_count:     42
    .sgpr_spill_count: 0
    .symbol:         _ZL19rocblas_sger_kernelILi1024E19rocblas_complex_numIdES1_PKS1_PS1_EviiT1_lT2_lllS6_lllT3_lmli.kd
    .uniform_work_group_size: 1
    .uses_dynamic_stack: false
    .vgpr_count:     24
    .vgpr_spill_count: 0
    .wavefront_size: 32
  - .args:
      - .offset:         0
        .size:           4
        .value_kind:     by_value
      - .offset:         4
        .size:           4
        .value_kind:     by_value
      - .address_space:  global
        .offset:         8
        .size:           8
        .value_kind:     global_buffer
      - .offset:         16
        .size:           8
        .value_kind:     by_value
      - .actual_access:  read_only
        .address_space:  global
        .offset:         24
        .size:           8
        .value_kind:     global_buffer
      - .offset:         32
        .size:           8
        .value_kind:     by_value
      - .offset:         40
        .size:           8
        .value_kind:     by_value
      - .offset:         48
        .size:           8
        .value_kind:     by_value
      - .actual_access:  read_only
        .address_space:  global
        .offset:         56
        .size:           8
        .value_kind:     global_buffer
      - .offset:         64
        .size:           8
        .value_kind:     by_value
      - .offset:         72
        .size:           8
        .value_kind:     by_value
      - .offset:         80
        .size:           8
        .value_kind:     by_value
      - .address_space:  global
        .offset:         88
        .size:           8
        .value_kind:     global_buffer
      - .offset:         96
        .size:           8
        .value_kind:     by_value
      - .offset:         104
        .size:           8
        .value_kind:     by_value
      - .offset:         112
        .size:           8
        .value_kind:     by_value
      - .offset:         120
        .size:           4
        .value_kind:     by_value
    .group_segment_fixed_size: 1536
    .kernarg_segment_align: 8
    .kernarg_segment_size: 124
    .language:       OpenCL C
    .language_version:
      - 2
      - 0
    .max_flat_workgroup_size: 1024
    .name:           _ZL18rocblas_ger_kernelILi32ELi32ELi2ELb0E19rocblas_complex_numIdEPKS1_S3_PS1_EviiT4_lT5_lllS6_lllT6_lmli
    .private_segment_fixed_size: 0
    .sgpr_count:     40
    .sgpr_spill_count: 0
    .symbol:         _ZL18rocblas_ger_kernelILi32ELi32ELi2ELb0E19rocblas_complex_numIdEPKS1_S3_PS1_EviiT4_lT5_lllS6_lllT6_lmli.kd
    .uniform_work_group_size: 1
    .uses_dynamic_stack: false
    .vgpr_count:     34
    .vgpr_spill_count: 0
    .wavefront_size: 32
  - .args:
      - .offset:         0
        .size:           4
        .value_kind:     by_value
      - .offset:         4
        .size:           4
        .value_kind:     by_value
      - .offset:         8
        .size:           16
        .value_kind:     by_value
      - .offset:         24
        .size:           8
        .value_kind:     by_value
      - .actual_access:  read_only
        .address_space:  global
        .offset:         32
        .size:           8
        .value_kind:     global_buffer
      - .offset:         40
        .size:           8
        .value_kind:     by_value
      - .offset:         48
        .size:           8
        .value_kind:     by_value
      - .offset:         56
        .size:           8
        .value_kind:     by_value
      - .actual_access:  read_only
        .address_space:  global
        .offset:         64
        .size:           8
        .value_kind:     global_buffer
      - .offset:         72
        .size:           8
        .value_kind:     by_value
      - .offset:         80
        .size:           8
        .value_kind:     by_value
      - .offset:         88
        .size:           8
        .value_kind:     by_value
      - .address_space:  global
        .offset:         96
        .size:           8
        .value_kind:     global_buffer
      - .offset:         104
        .size:           8
        .value_kind:     by_value
      - .offset:         112
        .size:           8
        .value_kind:     by_value
      - .offset:         120
        .size:           8
        .value_kind:     by_value
      - .offset:         128
        .size:           4
        .value_kind:     by_value
    .group_segment_fixed_size: 1536
    .kernarg_segment_align: 8
    .kernarg_segment_size: 132
    .language:       OpenCL C
    .language_version:
      - 2
      - 0
    .max_flat_workgroup_size: 1024
    .name:           _ZL18rocblas_ger_kernelILi32ELi32ELi2ELb0E19rocblas_complex_numIdES1_PKS1_PS1_EviiT4_lT5_lllS6_lllT6_lmli
    .private_segment_fixed_size: 0
    .sgpr_count:     40
    .sgpr_spill_count: 0
    .symbol:         _ZL18rocblas_ger_kernelILi32ELi32ELi2ELb0E19rocblas_complex_numIdES1_PKS1_PS1_EviiT4_lT5_lllS6_lllT6_lmli.kd
    .uniform_work_group_size: 1
    .uses_dynamic_stack: false
    .vgpr_count:     32
    .vgpr_spill_count: 0
    .wavefront_size: 32
  - .args:
      - .offset:         0
        .size:           1
        .value_kind:     by_value
      - .offset:         4
        .size:           4
        .value_kind:     by_value
      - .offset:         8
        .size:           4
        .value_kind:     by_value
      - .offset:         16
        .size:           8
        .value_kind:     by_value
      - .offset:         24
        .size:           8
        .value_kind:     by_value
      - .actual_access:  read_only
        .address_space:  global
        .offset:         32
        .size:           8
        .value_kind:     global_buffer
      - .offset:         40
        .size:           8
        .value_kind:     by_value
      - .offset:         48
        .size:           8
        .value_kind:     by_value
      - .offset:         56
        .size:           8
        .value_kind:     by_value
      - .actual_access:  read_only
        .address_space:  global
        .offset:         64
        .size:           8
        .value_kind:     global_buffer
      - .offset:         72
        .size:           8
        .value_kind:     by_value
      - .offset:         80
        .size:           8
        .value_kind:     by_value
      - .offset:         88
        .size:           8
        .value_kind:     by_value
      - .address_space:  global
        .offset:         96
        .size:           8
        .value_kind:     global_buffer
      - .offset:         104
        .size:           8
        .value_kind:     by_value
      - .offset:         112
        .size:           8
        .value_kind:     by_value
      - .offset:         120
        .size:           8
        .value_kind:     by_value
      - .offset:         128
        .size:           4
        .value_kind:     by_value
    .group_segment_fixed_size: 0
    .kernarg_segment_align: 8
    .kernarg_segment_size: 132
    .language:       OpenCL C
    .language_version:
      - 2
      - 0
    .max_flat_workgroup_size: 1024
    .name:           _ZL34rocblas_ger_double_buffered_kernelILb1ELi64ELi16ELi2E19rocblas_complex_numIfE24rocblas_internal_val_ptrIS1_EPKS1_PS1_EvbiiT4_lT5_lllS8_lllT6_lmli
    .private_segment_fixed_size: 0
    .sgpr_count:     43
    .sgpr_spill_count: 0
    .symbol:         _ZL34rocblas_ger_double_buffered_kernelILb1ELi64ELi16ELi2E19rocblas_complex_numIfE24rocblas_internal_val_ptrIS1_EPKS1_PS1_EvbiiT4_lT5_lllS8_lllT6_lmli.kd
    .uniform_work_group_size: 1
    .uses_dynamic_stack: false
    .vgpr_count:     44
    .vgpr_spill_count: 0
    .wavefront_size: 32
  - .args:
      - .offset:         0
        .size:           4
        .value_kind:     by_value
      - .offset:         4
        .size:           4
        .value_kind:     by_value
      - .address_space:  global
        .offset:         8
        .size:           8
        .value_kind:     global_buffer
      - .offset:         16
        .size:           8
        .value_kind:     by_value
      - .actual_access:  read_only
        .address_space:  global
        .offset:         24
        .size:           8
        .value_kind:     global_buffer
      - .offset:         32
        .size:           8
        .value_kind:     by_value
      - .offset:         40
        .size:           8
        .value_kind:     by_value
      - .offset:         48
        .size:           8
        .value_kind:     by_value
      - .actual_access:  read_only
        .address_space:  global
        .offset:         56
        .size:           8
        .value_kind:     global_buffer
      - .offset:         64
        .size:           8
        .value_kind:     by_value
      - .offset:         72
        .size:           8
        .value_kind:     by_value
      - .offset:         80
        .size:           8
        .value_kind:     by_value
      - .address_space:  global
        .offset:         88
        .size:           8
        .value_kind:     global_buffer
      - .offset:         96
        .size:           8
        .value_kind:     by_value
      - .offset:         104
        .size:           8
        .value_kind:     by_value
      - .offset:         112
        .size:           8
        .value_kind:     by_value
      - .offset:         120
        .size:           4
        .value_kind:     by_value
    .group_segment_fixed_size: 768
    .kernarg_segment_align: 8
    .kernarg_segment_size: 124
    .language:       OpenCL C
    .language_version:
      - 2
      - 0
    .max_flat_workgroup_size: 1024
    .name:           _ZL18rocblas_ger_kernelILi32ELi32ELi2ELb1E19rocblas_complex_numIfEPKS1_S3_PS1_EviiT4_lT5_lllS6_lllT6_lmli
    .private_segment_fixed_size: 0
    .sgpr_count:     40
    .sgpr_spill_count: 0
    .symbol:         _ZL18rocblas_ger_kernelILi32ELi32ELi2ELb1E19rocblas_complex_numIfEPKS1_S3_PS1_EviiT4_lT5_lllS6_lllT6_lmli.kd
    .uniform_work_group_size: 1
    .uses_dynamic_stack: false
    .vgpr_count:     30
    .vgpr_spill_count: 0
    .wavefront_size: 32
  - .args:
      - .offset:         0
        .size:           4
        .value_kind:     by_value
      - .offset:         4
        .size:           4
        .value_kind:     by_value
      - .offset:         8
        .size:           8
        .value_kind:     by_value
      - .offset:         16
        .size:           8
        .value_kind:     by_value
      - .actual_access:  read_only
        .address_space:  global
        .offset:         24
        .size:           8
        .value_kind:     global_buffer
      - .offset:         32
        .size:           8
        .value_kind:     by_value
      - .offset:         40
        .size:           8
        .value_kind:     by_value
      - .offset:         48
        .size:           8
        .value_kind:     by_value
      - .actual_access:  read_only
        .address_space:  global
        .offset:         56
        .size:           8
        .value_kind:     global_buffer
      - .offset:         64
        .size:           8
        .value_kind:     by_value
      - .offset:         72
        .size:           8
        .value_kind:     by_value
      - .offset:         80
        .size:           8
        .value_kind:     by_value
      - .address_space:  global
        .offset:         88
        .size:           8
        .value_kind:     global_buffer
      - .offset:         96
        .size:           8
        .value_kind:     by_value
      - .offset:         104
        .size:           8
        .value_kind:     by_value
      - .offset:         112
        .size:           8
        .value_kind:     by_value
      - .offset:         120
        .size:           4
        .value_kind:     by_value
    .group_segment_fixed_size: 768
    .kernarg_segment_align: 8
    .kernarg_segment_size: 124
    .language:       OpenCL C
    .language_version:
      - 2
      - 0
    .max_flat_workgroup_size: 1024
    .name:           _ZL18rocblas_ger_kernelILi32ELi32ELi2ELb1E19rocblas_complex_numIfES1_PKS1_PS1_EviiT4_lT5_lllS6_lllT6_lmli
    .private_segment_fixed_size: 0
    .sgpr_count:     38
    .sgpr_spill_count: 0
    .symbol:         _ZL18rocblas_ger_kernelILi32ELi32ELi2ELb1E19rocblas_complex_numIfES1_PKS1_PS1_EviiT4_lT5_lllS6_lllT6_lmli.kd
    .uniform_work_group_size: 1
    .uses_dynamic_stack: false
    .vgpr_count:     28
    .vgpr_spill_count: 0
    .wavefront_size: 32
  - .args:
      - .offset:         0
        .size:           1
        .value_kind:     by_value
      - .offset:         4
        .size:           4
        .value_kind:     by_value
      - .offset:         8
        .size:           4
        .value_kind:     by_value
      - .offset:         16
        .size:           16
        .value_kind:     by_value
      - .offset:         32
        .size:           8
        .value_kind:     by_value
      - .actual_access:  read_only
        .address_space:  global
        .offset:         40
        .size:           8
        .value_kind:     global_buffer
      - .offset:         48
        .size:           8
        .value_kind:     by_value
      - .offset:         56
        .size:           8
        .value_kind:     by_value
      - .offset:         64
        .size:           8
        .value_kind:     by_value
      - .actual_access:  read_only
        .address_space:  global
        .offset:         72
        .size:           8
        .value_kind:     global_buffer
      - .offset:         80
        .size:           8
        .value_kind:     by_value
      - .offset:         88
        .size:           8
        .value_kind:     by_value
      - .offset:         96
        .size:           8
        .value_kind:     by_value
      - .address_space:  global
        .offset:         104
        .size:           8
        .value_kind:     global_buffer
      - .offset:         112
        .size:           8
        .value_kind:     by_value
      - .offset:         120
        .size:           8
        .value_kind:     by_value
      - .offset:         128
        .size:           8
        .value_kind:     by_value
      - .offset:         136
        .size:           4
        .value_kind:     by_value
    .group_segment_fixed_size: 0
    .kernarg_segment_align: 8
    .kernarg_segment_size: 140
    .language:       OpenCL C
    .language_version:
      - 2
      - 0
    .max_flat_workgroup_size: 1024
    .name:           _ZL34rocblas_ger_double_buffered_kernelILb1ELi64ELi16ELi2E19rocblas_complex_numIdE24rocblas_internal_val_ptrIS1_EPKS1_PS1_EvbiiT4_lT5_lllS8_lllT6_lmli
    .private_segment_fixed_size: 0
    .sgpr_count:     45
    .sgpr_spill_count: 0
    .symbol:         _ZL34rocblas_ger_double_buffered_kernelILb1ELi64ELi16ELi2E19rocblas_complex_numIdE24rocblas_internal_val_ptrIS1_EPKS1_PS1_EvbiiT4_lT5_lllS8_lllT6_lmli.kd
    .uniform_work_group_size: 1
    .uses_dynamic_stack: false
    .vgpr_count:     58
    .vgpr_spill_count: 0
    .wavefront_size: 32
  - .args:
      - .offset:         0
        .size:           4
        .value_kind:     by_value
      - .offset:         4
        .size:           4
        .value_kind:     by_value
      - .address_space:  global
        .offset:         8
        .size:           8
        .value_kind:     global_buffer
      - .offset:         16
        .size:           8
        .value_kind:     by_value
      - .actual_access:  read_only
        .address_space:  global
        .offset:         24
        .size:           8
        .value_kind:     global_buffer
      - .offset:         32
        .size:           8
        .value_kind:     by_value
      - .offset:         40
        .size:           8
        .value_kind:     by_value
      - .offset:         48
        .size:           8
        .value_kind:     by_value
      - .actual_access:  read_only
        .address_space:  global
        .offset:         56
        .size:           8
        .value_kind:     global_buffer
      - .offset:         64
        .size:           8
        .value_kind:     by_value
      - .offset:         72
        .size:           8
        .value_kind:     by_value
      - .offset:         80
        .size:           8
        .value_kind:     by_value
      - .address_space:  global
        .offset:         88
        .size:           8
        .value_kind:     global_buffer
      - .offset:         96
        .size:           8
        .value_kind:     by_value
      - .offset:         104
        .size:           8
        .value_kind:     by_value
      - .offset:         112
        .size:           8
        .value_kind:     by_value
      - .offset:         120
        .size:           4
        .value_kind:     by_value
    .group_segment_fixed_size: 1536
    .kernarg_segment_align: 8
    .kernarg_segment_size: 124
    .language:       OpenCL C
    .language_version:
      - 2
      - 0
    .max_flat_workgroup_size: 1024
    .name:           _ZL18rocblas_ger_kernelILi32ELi32ELi2ELb1E19rocblas_complex_numIdEPKS1_S3_PS1_EviiT4_lT5_lllS6_lllT6_lmli
    .private_segment_fixed_size: 0
    .sgpr_count:     40
    .sgpr_spill_count: 0
    .symbol:         _ZL18rocblas_ger_kernelILi32ELi32ELi2ELb1E19rocblas_complex_numIdEPKS1_S3_PS1_EviiT4_lT5_lllS6_lllT6_lmli.kd
    .uniform_work_group_size: 1
    .uses_dynamic_stack: false
    .vgpr_count:     34
    .vgpr_spill_count: 0
    .wavefront_size: 32
  - .args:
      - .offset:         0
        .size:           4
        .value_kind:     by_value
      - .offset:         4
        .size:           4
        .value_kind:     by_value
      - .offset:         8
        .size:           16
        .value_kind:     by_value
      - .offset:         24
        .size:           8
        .value_kind:     by_value
      - .actual_access:  read_only
        .address_space:  global
        .offset:         32
        .size:           8
        .value_kind:     global_buffer
      - .offset:         40
        .size:           8
        .value_kind:     by_value
      - .offset:         48
        .size:           8
        .value_kind:     by_value
      - .offset:         56
        .size:           8
        .value_kind:     by_value
      - .actual_access:  read_only
        .address_space:  global
        .offset:         64
        .size:           8
        .value_kind:     global_buffer
      - .offset:         72
        .size:           8
        .value_kind:     by_value
      - .offset:         80
        .size:           8
        .value_kind:     by_value
      - .offset:         88
        .size:           8
        .value_kind:     by_value
      - .address_space:  global
        .offset:         96
        .size:           8
        .value_kind:     global_buffer
      - .offset:         104
        .size:           8
        .value_kind:     by_value
      - .offset:         112
        .size:           8
        .value_kind:     by_value
      - .offset:         120
        .size:           8
        .value_kind:     by_value
      - .offset:         128
        .size:           4
        .value_kind:     by_value
    .group_segment_fixed_size: 1536
    .kernarg_segment_align: 8
    .kernarg_segment_size: 132
    .language:       OpenCL C
    .language_version:
      - 2
      - 0
    .max_flat_workgroup_size: 1024
    .name:           _ZL18rocblas_ger_kernelILi32ELi32ELi2ELb1E19rocblas_complex_numIdES1_PKS1_PS1_EviiT4_lT5_lllS6_lllT6_lmli
    .private_segment_fixed_size: 0
    .sgpr_count:     40
    .sgpr_spill_count: 0
    .symbol:         _ZL18rocblas_ger_kernelILi32ELi32ELi2ELb1E19rocblas_complex_numIdES1_PKS1_PS1_EviiT4_lT5_lllS6_lllT6_lmli.kd
    .uniform_work_group_size: 1
    .uses_dynamic_stack: false
    .vgpr_count:     32
    .vgpr_spill_count: 0
    .wavefront_size: 32
  - .args:
      - .offset:         0
        .size:           1
        .value_kind:     by_value
      - .offset:         4
        .size:           4
        .value_kind:     by_value
      - .offset:         8
        .size:           4
        .value_kind:     by_value
      - .offset:         16
        .size:           8
        .value_kind:     by_value
      - .offset:         24
        .size:           8
        .value_kind:     by_value
      - .actual_access:  read_only
        .address_space:  global
        .offset:         32
        .size:           8
        .value_kind:     global_buffer
      - .offset:         40
        .size:           8
        .value_kind:     by_value
      - .offset:         48
        .size:           8
        .value_kind:     by_value
      - .offset:         56
        .size:           8
        .value_kind:     by_value
      - .actual_access:  read_only
        .address_space:  global
        .offset:         64
        .size:           8
        .value_kind:     global_buffer
      - .offset:         72
        .size:           8
        .value_kind:     by_value
      - .offset:         80
        .size:           8
        .value_kind:     by_value
      - .offset:         88
        .size:           8
        .value_kind:     by_value
      - .actual_access:  read_only
        .address_space:  global
        .offset:         96
        .size:           8
        .value_kind:     global_buffer
      - .offset:         104
        .size:           8
        .value_kind:     by_value
      - .offset:         112
        .size:           8
        .value_kind:     by_value
      - .offset:         120
        .size:           8
        .value_kind:     by_value
      - .offset:         128
        .size:           4
        .value_kind:     by_value
    .group_segment_fixed_size: 0
    .kernarg_segment_align: 8
    .kernarg_segment_size: 132
    .language:       OpenCL C
    .language_version:
      - 2
      - 0
    .max_flat_workgroup_size: 1024
    .name:           _ZL34rocblas_ger_double_buffered_kernelILb0ELi128ELi8ELi8Ef24rocblas_internal_val_ptrIfEPKPKfPKPfEvbiiT4_lT5_lllSA_lllT6_lmli
    .private_segment_fixed_size: 0
    .sgpr_count:     52
    .sgpr_spill_count: 0
    .symbol:         _ZL34rocblas_ger_double_buffered_kernelILb0ELi128ELi8ELi8Ef24rocblas_internal_val_ptrIfEPKPKfPKPfEvbiiT4_lT5_lllSA_lllT6_lmli.kd
    .uniform_work_group_size: 1
    .uses_dynamic_stack: false
    .vgpr_count:     65
    .vgpr_spill_count: 0
    .wavefront_size: 32
  - .args:
      - .offset:         0
        .size:           4
        .value_kind:     by_value
      - .offset:         4
        .size:           4
        .value_kind:     by_value
      - .address_space:  global
        .offset:         8
        .size:           8
        .value_kind:     global_buffer
      - .offset:         16
        .size:           8
        .value_kind:     by_value
      - .address_space:  global
        .offset:         24
        .size:           8
        .value_kind:     global_buffer
      - .offset:         32
        .size:           8
        .value_kind:     by_value
      - .offset:         40
        .size:           8
        .value_kind:     by_value
      - .offset:         48
        .size:           8
        .value_kind:     by_value
      - .address_space:  global
        .offset:         56
        .size:           8
        .value_kind:     global_buffer
      - .offset:         64
        .size:           8
        .value_kind:     by_value
      - .offset:         72
        .size:           8
        .value_kind:     by_value
      - .offset:         80
        .size:           8
        .value_kind:     by_value
      - .address_space:  global
        .offset:         88
        .size:           8
        .value_kind:     global_buffer
      - .offset:         96
        .size:           8
        .value_kind:     by_value
      - .offset:         104
        .size:           8
        .value_kind:     by_value
      - .offset:         112
        .size:           8
        .value_kind:     by_value
    .group_segment_fixed_size: 0
    .kernarg_segment_align: 8
    .kernarg_segment_size: 120
    .language:       OpenCL C
    .language_version:
      - 2
      - 0
    .max_flat_workgroup_size: 256
    .name:           _ZL26rocblas_sger_gfx942_kernelILi256EfPKfPKS1_PKPfEviiT1_lT2_lllS8_lllT3_lll
    .private_segment_fixed_size: 0
    .sgpr_count:     0
    .sgpr_spill_count: 0
    .symbol:         _ZL26rocblas_sger_gfx942_kernelILi256EfPKfPKS1_PKPfEviiT1_lT2_lllS8_lllT3_lll.kd
    .uniform_work_group_size: 1
    .uses_dynamic_stack: false
    .vgpr_count:     0
    .vgpr_spill_count: 0
    .wavefront_size: 32
  - .args:
      - .offset:         0
        .size:           4
        .value_kind:     by_value
      - .offset:         4
        .size:           4
        .value_kind:     by_value
      - .offset:         8
        .size:           4
        .value_kind:     by_value
      - .offset:         16
        .size:           8
        .value_kind:     by_value
      - .address_space:  global
        .offset:         24
        .size:           8
        .value_kind:     global_buffer
      - .offset:         32
        .size:           8
        .value_kind:     by_value
      - .offset:         40
        .size:           8
        .value_kind:     by_value
      - .offset:         48
        .size:           8
        .value_kind:     by_value
      - .address_space:  global
        .offset:         56
        .size:           8
        .value_kind:     global_buffer
      - .offset:         64
        .size:           8
        .value_kind:     by_value
      - .offset:         72
        .size:           8
        .value_kind:     by_value
      - .offset:         80
        .size:           8
        .value_kind:     by_value
      - .address_space:  global
        .offset:         88
        .size:           8
        .value_kind:     global_buffer
      - .offset:         96
        .size:           8
        .value_kind:     by_value
      - .offset:         104
        .size:           8
        .value_kind:     by_value
      - .offset:         112
        .size:           8
        .value_kind:     by_value
    .group_segment_fixed_size: 0
    .kernarg_segment_align: 8
    .kernarg_segment_size: 120
    .language:       OpenCL C
    .language_version:
      - 2
      - 0
    .max_flat_workgroup_size: 256
    .name:           _ZL26rocblas_sger_gfx942_kernelILi256EffPKPKfPKPfEviiT1_lT2_lllS8_lllT3_lll
    .private_segment_fixed_size: 0
    .sgpr_count:     0
    .sgpr_spill_count: 0
    .symbol:         _ZL26rocblas_sger_gfx942_kernelILi256EffPKPKfPKPfEviiT1_lT2_lllS8_lllT3_lll.kd
    .uniform_work_group_size: 1
    .uses_dynamic_stack: false
    .vgpr_count:     0
    .vgpr_spill_count: 0
    .wavefront_size: 32
  - .args:
      - .offset:         0
        .size:           4
        .value_kind:     by_value
      - .offset:         4
        .size:           4
        .value_kind:     by_value
      - .address_space:  global
        .offset:         8
        .size:           8
        .value_kind:     global_buffer
      - .offset:         16
        .size:           8
        .value_kind:     by_value
      - .actual_access:  read_only
        .address_space:  global
        .offset:         24
        .size:           8
        .value_kind:     global_buffer
      - .offset:         32
        .size:           8
        .value_kind:     by_value
      - .offset:         40
        .size:           8
        .value_kind:     by_value
      - .offset:         48
        .size:           8
        .value_kind:     by_value
      - .actual_access:  read_only
        .address_space:  global
        .offset:         56
        .size:           8
        .value_kind:     global_buffer
      - .offset:         64
        .size:           8
        .value_kind:     by_value
      - .offset:         72
        .size:           8
        .value_kind:     by_value
      - .offset:         80
        .size:           8
        .value_kind:     by_value
      - .actual_access:  read_only
        .address_space:  global
        .offset:         88
        .size:           8
        .value_kind:     global_buffer
      - .offset:         96
        .size:           8
        .value_kind:     by_value
      - .offset:         104
        .size:           8
        .value_kind:     by_value
      - .offset:         112
        .size:           8
        .value_kind:     by_value
      - .offset:         120
        .size:           4
        .value_kind:     by_value
    .group_segment_fixed_size: 0
    .kernarg_segment_align: 8
    .kernarg_segment_size: 124
    .language:       OpenCL C
    .language_version:
      - 2
      - 0
    .max_flat_workgroup_size: 1024
    .name:           _ZL19rocblas_sger_kernelILi1024EfPKfPKS1_PKPfEviiT1_lT2_lllS8_lllT3_lmli
    .private_segment_fixed_size: 0
    .sgpr_count:     34
    .sgpr_spill_count: 0
    .symbol:         _ZL19rocblas_sger_kernelILi1024EfPKfPKS1_PKPfEviiT1_lT2_lllS8_lllT3_lmli.kd
    .uniform_work_group_size: 1
    .uses_dynamic_stack: false
    .vgpr_count:     13
    .vgpr_spill_count: 0
    .wavefront_size: 32
  - .args:
      - .offset:         0
        .size:           4
        .value_kind:     by_value
      - .offset:         4
        .size:           4
        .value_kind:     by_value
      - .offset:         8
        .size:           4
        .value_kind:     by_value
      - .offset:         16
        .size:           8
        .value_kind:     by_value
      - .actual_access:  read_only
        .address_space:  global
        .offset:         24
        .size:           8
        .value_kind:     global_buffer
      - .offset:         32
        .size:           8
        .value_kind:     by_value
      - .offset:         40
        .size:           8
        .value_kind:     by_value
      - .offset:         48
        .size:           8
        .value_kind:     by_value
      - .actual_access:  read_only
        .address_space:  global
        .offset:         56
        .size:           8
        .value_kind:     global_buffer
      - .offset:         64
        .size:           8
        .value_kind:     by_value
      - .offset:         72
        .size:           8
        .value_kind:     by_value
      - .offset:         80
        .size:           8
        .value_kind:     by_value
      - .actual_access:  read_only
        .address_space:  global
        .offset:         88
        .size:           8
        .value_kind:     global_buffer
      - .offset:         96
        .size:           8
        .value_kind:     by_value
      - .offset:         104
        .size:           8
        .value_kind:     by_value
      - .offset:         112
        .size:           8
        .value_kind:     by_value
      - .offset:         120
        .size:           4
        .value_kind:     by_value
    .group_segment_fixed_size: 0
    .kernarg_segment_align: 8
    .kernarg_segment_size: 124
    .language:       OpenCL C
    .language_version:
      - 2
      - 0
    .max_flat_workgroup_size: 1024
    .name:           _ZL19rocblas_sger_kernelILi1024EffPKPKfPKPfEviiT1_lT2_lllS8_lllT3_lmli
    .private_segment_fixed_size: 0
    .sgpr_count:     34
    .sgpr_spill_count: 0
    .symbol:         _ZL19rocblas_sger_kernelILi1024EffPKPKfPKPfEviiT1_lT2_lllS8_lllT3_lmli.kd
    .uniform_work_group_size: 1
    .uses_dynamic_stack: false
    .vgpr_count:     13
    .vgpr_spill_count: 0
    .wavefront_size: 32
  - .args:
      - .offset:         0
        .size:           4
        .value_kind:     by_value
      - .offset:         4
        .size:           4
        .value_kind:     by_value
      - .address_space:  global
        .offset:         8
        .size:           8
        .value_kind:     global_buffer
      - .offset:         16
        .size:           8
        .value_kind:     by_value
      - .actual_access:  read_only
        .address_space:  global
        .offset:         24
        .size:           8
        .value_kind:     global_buffer
      - .offset:         32
        .size:           8
        .value_kind:     by_value
      - .offset:         40
        .size:           8
        .value_kind:     by_value
      - .offset:         48
        .size:           8
        .value_kind:     by_value
      - .actual_access:  read_only
        .address_space:  global
        .offset:         56
        .size:           8
        .value_kind:     global_buffer
      - .offset:         64
        .size:           8
        .value_kind:     by_value
      - .offset:         72
        .size:           8
        .value_kind:     by_value
      - .offset:         80
        .size:           8
        .value_kind:     by_value
      - .actual_access:  read_only
        .address_space:  global
        .offset:         88
        .size:           8
        .value_kind:     global_buffer
      - .offset:         96
        .size:           8
        .value_kind:     by_value
      - .offset:         104
        .size:           8
        .value_kind:     by_value
      - .offset:         112
        .size:           8
        .value_kind:     by_value
      - .offset:         120
        .size:           4
        .value_kind:     by_value
    .group_segment_fixed_size: 384
    .kernarg_segment_align: 8
    .kernarg_segment_size: 124
    .language:       OpenCL C
    .language_version:
      - 2
      - 0
    .max_flat_workgroup_size: 1024
    .name:           _ZL18rocblas_ger_kernelILi32ELi32ELi2ELb0EfPKfPKS1_PKPfEviiT4_lT5_lllS8_lllT6_lmli
    .private_segment_fixed_size: 0
    .sgpr_count:     40
    .sgpr_spill_count: 0
    .symbol:         _ZL18rocblas_ger_kernelILi32ELi32ELi2ELb0EfPKfPKS1_PKPfEviiT4_lT5_lllS8_lllT6_lmli.kd
    .uniform_work_group_size: 1
    .uses_dynamic_stack: false
    .vgpr_count:     21
    .vgpr_spill_count: 0
    .wavefront_size: 32
  - .args:
      - .offset:         0
        .size:           4
        .value_kind:     by_value
      - .offset:         4
        .size:           4
        .value_kind:     by_value
      - .offset:         8
        .size:           4
        .value_kind:     by_value
      - .offset:         16
        .size:           8
        .value_kind:     by_value
      - .actual_access:  read_only
        .address_space:  global
        .offset:         24
        .size:           8
        .value_kind:     global_buffer
      - .offset:         32
        .size:           8
        .value_kind:     by_value
      - .offset:         40
        .size:           8
        .value_kind:     by_value
      - .offset:         48
        .size:           8
        .value_kind:     by_value
      - .actual_access:  read_only
        .address_space:  global
        .offset:         56
        .size:           8
        .value_kind:     global_buffer
      - .offset:         64
        .size:           8
        .value_kind:     by_value
      - .offset:         72
        .size:           8
        .value_kind:     by_value
      - .offset:         80
        .size:           8
        .value_kind:     by_value
      - .actual_access:  read_only
        .address_space:  global
        .offset:         88
        .size:           8
        .value_kind:     global_buffer
      - .offset:         96
        .size:           8
        .value_kind:     by_value
      - .offset:         104
        .size:           8
        .value_kind:     by_value
      - .offset:         112
        .size:           8
        .value_kind:     by_value
      - .offset:         120
        .size:           4
        .value_kind:     by_value
    .group_segment_fixed_size: 384
    .kernarg_segment_align: 8
    .kernarg_segment_size: 124
    .language:       OpenCL C
    .language_version:
      - 2
      - 0
    .max_flat_workgroup_size: 1024
    .name:           _ZL18rocblas_ger_kernelILi32ELi32ELi2ELb0EffPKPKfPKPfEviiT4_lT5_lllS8_lllT6_lmli
    .private_segment_fixed_size: 0
    .sgpr_count:     34
    .sgpr_spill_count: 0
    .symbol:         _ZL18rocblas_ger_kernelILi32ELi32ELi2ELb0EffPKPKfPKPfEviiT4_lT5_lllS8_lllT6_lmli.kd
    .uniform_work_group_size: 1
    .uses_dynamic_stack: false
    .vgpr_count:     20
    .vgpr_spill_count: 0
    .wavefront_size: 32
  - .args:
      - .offset:         0
        .size:           1
        .value_kind:     by_value
      - .offset:         4
        .size:           4
        .value_kind:     by_value
      - .offset:         8
        .size:           4
        .value_kind:     by_value
      - .offset:         16
        .size:           8
        .value_kind:     by_value
      - .offset:         24
        .size:           8
        .value_kind:     by_value
      - .actual_access:  read_only
        .address_space:  global
        .offset:         32
        .size:           8
        .value_kind:     global_buffer
      - .offset:         40
        .size:           8
        .value_kind:     by_value
      - .offset:         48
        .size:           8
        .value_kind:     by_value
      - .offset:         56
        .size:           8
        .value_kind:     by_value
      - .actual_access:  read_only
        .address_space:  global
        .offset:         64
        .size:           8
        .value_kind:     global_buffer
      - .offset:         72
        .size:           8
        .value_kind:     by_value
      - .offset:         80
        .size:           8
        .value_kind:     by_value
      - .offset:         88
        .size:           8
        .value_kind:     by_value
      - .actual_access:  read_only
        .address_space:  global
        .offset:         96
        .size:           8
        .value_kind:     global_buffer
      - .offset:         104
        .size:           8
        .value_kind:     by_value
      - .offset:         112
        .size:           8
        .value_kind:     by_value
      - .offset:         120
        .size:           8
        .value_kind:     by_value
      - .offset:         128
        .size:           4
        .value_kind:     by_value
    .group_segment_fixed_size: 0
    .kernarg_segment_align: 8
    .kernarg_segment_size: 132
    .language:       OpenCL C
    .language_version:
      - 2
      - 0
    .max_flat_workgroup_size: 1024
    .name:           _ZL34rocblas_ger_double_buffered_kernelILb0ELi64ELi16ELi2Ed24rocblas_internal_val_ptrIdEPKPKdPKPdEvbiiT4_lT5_lllSA_lllT6_lmli
    .private_segment_fixed_size: 0
    .sgpr_count:     40
    .sgpr_spill_count: 0
    .symbol:         _ZL34rocblas_ger_double_buffered_kernelILb0ELi64ELi16ELi2Ed24rocblas_internal_val_ptrIdEPKPKdPKPdEvbiiT4_lT5_lllSA_lllT6_lmli.kd
    .uniform_work_group_size: 1
    .uses_dynamic_stack: false
    .vgpr_count:     38
    .vgpr_spill_count: 0
    .wavefront_size: 32
  - .args:
      - .offset:         0
        .size:           4
        .value_kind:     by_value
      - .offset:         4
        .size:           4
        .value_kind:     by_value
      - .address_space:  global
        .offset:         8
        .size:           8
        .value_kind:     global_buffer
      - .offset:         16
        .size:           8
        .value_kind:     by_value
      - .address_space:  global
        .offset:         24
        .size:           8
        .value_kind:     global_buffer
      - .offset:         32
        .size:           8
        .value_kind:     by_value
      - .offset:         40
        .size:           8
        .value_kind:     by_value
      - .offset:         48
        .size:           8
        .value_kind:     by_value
      - .address_space:  global
        .offset:         56
        .size:           8
        .value_kind:     global_buffer
      - .offset:         64
        .size:           8
        .value_kind:     by_value
      - .offset:         72
        .size:           8
        .value_kind:     by_value
      - .offset:         80
        .size:           8
        .value_kind:     by_value
      - .address_space:  global
        .offset:         88
        .size:           8
        .value_kind:     global_buffer
      - .offset:         96
        .size:           8
        .value_kind:     by_value
      - .offset:         104
        .size:           8
        .value_kind:     by_value
      - .offset:         112
        .size:           8
        .value_kind:     by_value
    .group_segment_fixed_size: 0
    .kernarg_segment_align: 8
    .kernarg_segment_size: 120
    .language:       OpenCL C
    .language_version:
      - 2
      - 0
    .max_flat_workgroup_size: 256
    .name:           _ZL26rocblas_sger_gfx942_kernelILi256EdPKdPKS1_PKPdEviiT1_lT2_lllS8_lllT3_lll
    .private_segment_fixed_size: 0
    .sgpr_count:     0
    .sgpr_spill_count: 0
    .symbol:         _ZL26rocblas_sger_gfx942_kernelILi256EdPKdPKS1_PKPdEviiT1_lT2_lllS8_lllT3_lll.kd
    .uniform_work_group_size: 1
    .uses_dynamic_stack: false
    .vgpr_count:     0
    .vgpr_spill_count: 0
    .wavefront_size: 32
  - .args:
      - .offset:         0
        .size:           4
        .value_kind:     by_value
      - .offset:         4
        .size:           4
        .value_kind:     by_value
      - .offset:         8
        .size:           8
        .value_kind:     by_value
      - .offset:         16
        .size:           8
        .value_kind:     by_value
      - .address_space:  global
        .offset:         24
        .size:           8
        .value_kind:     global_buffer
      - .offset:         32
        .size:           8
        .value_kind:     by_value
      - .offset:         40
        .size:           8
        .value_kind:     by_value
      - .offset:         48
        .size:           8
        .value_kind:     by_value
      - .address_space:  global
        .offset:         56
        .size:           8
        .value_kind:     global_buffer
      - .offset:         64
        .size:           8
        .value_kind:     by_value
      - .offset:         72
        .size:           8
        .value_kind:     by_value
      - .offset:         80
        .size:           8
        .value_kind:     by_value
      - .address_space:  global
        .offset:         88
        .size:           8
        .value_kind:     global_buffer
      - .offset:         96
        .size:           8
        .value_kind:     by_value
      - .offset:         104
        .size:           8
        .value_kind:     by_value
      - .offset:         112
        .size:           8
        .value_kind:     by_value
    .group_segment_fixed_size: 0
    .kernarg_segment_align: 8
    .kernarg_segment_size: 120
    .language:       OpenCL C
    .language_version:
      - 2
      - 0
    .max_flat_workgroup_size: 256
    .name:           _ZL26rocblas_sger_gfx942_kernelILi256EddPKPKdPKPdEviiT1_lT2_lllS8_lllT3_lll
    .private_segment_fixed_size: 0
    .sgpr_count:     0
    .sgpr_spill_count: 0
    .symbol:         _ZL26rocblas_sger_gfx942_kernelILi256EddPKPKdPKPdEviiT1_lT2_lllS8_lllT3_lll.kd
    .uniform_work_group_size: 1
    .uses_dynamic_stack: false
    .vgpr_count:     0
    .vgpr_spill_count: 0
    .wavefront_size: 32
  - .args:
      - .offset:         0
        .size:           4
        .value_kind:     by_value
      - .offset:         4
        .size:           4
        .value_kind:     by_value
      - .address_space:  global
        .offset:         8
        .size:           8
        .value_kind:     global_buffer
      - .offset:         16
        .size:           8
        .value_kind:     by_value
      - .actual_access:  read_only
        .address_space:  global
        .offset:         24
        .size:           8
        .value_kind:     global_buffer
      - .offset:         32
        .size:           8
        .value_kind:     by_value
      - .offset:         40
        .size:           8
        .value_kind:     by_value
      - .offset:         48
        .size:           8
        .value_kind:     by_value
      - .actual_access:  read_only
        .address_space:  global
        .offset:         56
        .size:           8
        .value_kind:     global_buffer
      - .offset:         64
        .size:           8
        .value_kind:     by_value
      - .offset:         72
        .size:           8
        .value_kind:     by_value
      - .offset:         80
        .size:           8
        .value_kind:     by_value
      - .actual_access:  read_only
        .address_space:  global
        .offset:         88
        .size:           8
        .value_kind:     global_buffer
      - .offset:         96
        .size:           8
        .value_kind:     by_value
      - .offset:         104
        .size:           8
        .value_kind:     by_value
      - .offset:         112
        .size:           8
        .value_kind:     by_value
      - .offset:         120
        .size:           4
        .value_kind:     by_value
    .group_segment_fixed_size: 0
    .kernarg_segment_align: 8
    .kernarg_segment_size: 124
    .language:       OpenCL C
    .language_version:
      - 2
      - 0
    .max_flat_workgroup_size: 1024
    .name:           _ZL19rocblas_sger_kernelILi1024EdPKdPKS1_PKPdEviiT1_lT2_lllS8_lllT3_lmli
    .private_segment_fixed_size: 0
    .sgpr_count:     34
    .sgpr_spill_count: 0
    .symbol:         _ZL19rocblas_sger_kernelILi1024EdPKdPKS1_PKPdEviiT1_lT2_lllS8_lllT3_lmli.kd
    .uniform_work_group_size: 1
    .uses_dynamic_stack: false
    .vgpr_count:     16
    .vgpr_spill_count: 0
    .wavefront_size: 32
  - .args:
      - .offset:         0
        .size:           4
        .value_kind:     by_value
      - .offset:         4
        .size:           4
        .value_kind:     by_value
      - .offset:         8
        .size:           8
        .value_kind:     by_value
      - .offset:         16
        .size:           8
        .value_kind:     by_value
      - .actual_access:  read_only
        .address_space:  global
        .offset:         24
        .size:           8
        .value_kind:     global_buffer
      - .offset:         32
        .size:           8
        .value_kind:     by_value
      - .offset:         40
        .size:           8
        .value_kind:     by_value
      - .offset:         48
        .size:           8
        .value_kind:     by_value
      - .actual_access:  read_only
        .address_space:  global
        .offset:         56
        .size:           8
        .value_kind:     global_buffer
      - .offset:         64
        .size:           8
        .value_kind:     by_value
      - .offset:         72
        .size:           8
        .value_kind:     by_value
      - .offset:         80
        .size:           8
        .value_kind:     by_value
      - .actual_access:  read_only
        .address_space:  global
        .offset:         88
        .size:           8
        .value_kind:     global_buffer
      - .offset:         96
        .size:           8
        .value_kind:     by_value
      - .offset:         104
        .size:           8
        .value_kind:     by_value
      - .offset:         112
        .size:           8
        .value_kind:     by_value
      - .offset:         120
        .size:           4
        .value_kind:     by_value
    .group_segment_fixed_size: 0
    .kernarg_segment_align: 8
    .kernarg_segment_size: 124
    .language:       OpenCL C
    .language_version:
      - 2
      - 0
    .max_flat_workgroup_size: 1024
    .name:           _ZL19rocblas_sger_kernelILi1024EddPKPKdPKPdEviiT1_lT2_lllS8_lllT3_lmli
    .private_segment_fixed_size: 0
    .sgpr_count:     32
    .sgpr_spill_count: 0
    .symbol:         _ZL19rocblas_sger_kernelILi1024EddPKPKdPKPdEviiT1_lT2_lllS8_lllT3_lmli.kd
    .uniform_work_group_size: 1
    .uses_dynamic_stack: false
    .vgpr_count:     16
    .vgpr_spill_count: 0
    .wavefront_size: 32
  - .args:
      - .offset:         0
        .size:           4
        .value_kind:     by_value
      - .offset:         4
        .size:           4
        .value_kind:     by_value
      - .address_space:  global
        .offset:         8
        .size:           8
        .value_kind:     global_buffer
      - .offset:         16
        .size:           8
        .value_kind:     by_value
      - .actual_access:  read_only
        .address_space:  global
        .offset:         24
        .size:           8
        .value_kind:     global_buffer
      - .offset:         32
        .size:           8
        .value_kind:     by_value
      - .offset:         40
        .size:           8
        .value_kind:     by_value
      - .offset:         48
        .size:           8
        .value_kind:     by_value
      - .actual_access:  read_only
        .address_space:  global
        .offset:         56
        .size:           8
        .value_kind:     global_buffer
      - .offset:         64
        .size:           8
        .value_kind:     by_value
      - .offset:         72
        .size:           8
        .value_kind:     by_value
      - .offset:         80
        .size:           8
        .value_kind:     by_value
      - .actual_access:  read_only
        .address_space:  global
        .offset:         88
        .size:           8
        .value_kind:     global_buffer
      - .offset:         96
        .size:           8
        .value_kind:     by_value
      - .offset:         104
        .size:           8
        .value_kind:     by_value
      - .offset:         112
        .size:           8
        .value_kind:     by_value
      - .offset:         120
        .size:           4
        .value_kind:     by_value
    .group_segment_fixed_size: 768
    .kernarg_segment_align: 8
    .kernarg_segment_size: 124
    .language:       OpenCL C
    .language_version:
      - 2
      - 0
    .max_flat_workgroup_size: 1024
    .name:           _ZL18rocblas_ger_kernelILi32ELi32ELi2ELb0EdPKdPKS1_PKPdEviiT4_lT5_lllS8_lllT6_lmli
    .private_segment_fixed_size: 0
    .sgpr_count:     40
    .sgpr_spill_count: 0
    .symbol:         _ZL18rocblas_ger_kernelILi32ELi32ELi2ELb0EdPKdPKS1_PKPdEviiT4_lT5_lllS8_lllT6_lmli.kd
    .uniform_work_group_size: 1
    .uses_dynamic_stack: false
    .vgpr_count:     24
    .vgpr_spill_count: 0
    .wavefront_size: 32
  - .args:
      - .offset:         0
        .size:           4
        .value_kind:     by_value
      - .offset:         4
        .size:           4
        .value_kind:     by_value
      - .offset:         8
        .size:           8
        .value_kind:     by_value
      - .offset:         16
        .size:           8
        .value_kind:     by_value
      - .actual_access:  read_only
        .address_space:  global
        .offset:         24
        .size:           8
        .value_kind:     global_buffer
      - .offset:         32
        .size:           8
        .value_kind:     by_value
      - .offset:         40
        .size:           8
        .value_kind:     by_value
      - .offset:         48
        .size:           8
        .value_kind:     by_value
      - .actual_access:  read_only
        .address_space:  global
        .offset:         56
        .size:           8
        .value_kind:     global_buffer
      - .offset:         64
        .size:           8
        .value_kind:     by_value
      - .offset:         72
        .size:           8
        .value_kind:     by_value
      - .offset:         80
        .size:           8
        .value_kind:     by_value
      - .actual_access:  read_only
        .address_space:  global
        .offset:         88
        .size:           8
        .value_kind:     global_buffer
      - .offset:         96
        .size:           8
        .value_kind:     by_value
      - .offset:         104
        .size:           8
        .value_kind:     by_value
      - .offset:         112
        .size:           8
        .value_kind:     by_value
      - .offset:         120
        .size:           4
        .value_kind:     by_value
    .group_segment_fixed_size: 768
    .kernarg_segment_align: 8
    .kernarg_segment_size: 124
    .language:       OpenCL C
    .language_version:
      - 2
      - 0
    .max_flat_workgroup_size: 1024
    .name:           _ZL18rocblas_ger_kernelILi32ELi32ELi2ELb0EddPKPKdPKPdEviiT4_lT5_lllS8_lllT6_lmli
    .private_segment_fixed_size: 0
    .sgpr_count:     34
    .sgpr_spill_count: 0
    .symbol:         _ZL18rocblas_ger_kernelILi32ELi32ELi2ELb0EddPKPKdPKPdEviiT4_lT5_lllS8_lllT6_lmli.kd
    .uniform_work_group_size: 1
    .uses_dynamic_stack: false
    .vgpr_count:     24
    .vgpr_spill_count: 0
    .wavefront_size: 32
  - .args:
      - .offset:         0
        .size:           1
        .value_kind:     by_value
      - .offset:         4
        .size:           4
        .value_kind:     by_value
      - .offset:         8
        .size:           4
        .value_kind:     by_value
      - .offset:         16
        .size:           8
        .value_kind:     by_value
      - .offset:         24
        .size:           8
        .value_kind:     by_value
      - .actual_access:  read_only
        .address_space:  global
        .offset:         32
        .size:           8
        .value_kind:     global_buffer
      - .offset:         40
        .size:           8
        .value_kind:     by_value
      - .offset:         48
        .size:           8
        .value_kind:     by_value
      - .offset:         56
        .size:           8
        .value_kind:     by_value
      - .actual_access:  read_only
        .address_space:  global
        .offset:         64
        .size:           8
        .value_kind:     global_buffer
      - .offset:         72
        .size:           8
        .value_kind:     by_value
      - .offset:         80
        .size:           8
        .value_kind:     by_value
      - .offset:         88
        .size:           8
        .value_kind:     by_value
      - .actual_access:  read_only
        .address_space:  global
        .offset:         96
        .size:           8
        .value_kind:     global_buffer
      - .offset:         104
        .size:           8
        .value_kind:     by_value
      - .offset:         112
        .size:           8
        .value_kind:     by_value
      - .offset:         120
        .size:           8
        .value_kind:     by_value
      - .offset:         128
        .size:           4
        .value_kind:     by_value
    .group_segment_fixed_size: 0
    .kernarg_segment_align: 8
    .kernarg_segment_size: 132
    .language:       OpenCL C
    .language_version:
      - 2
      - 0
    .max_flat_workgroup_size: 1024
    .name:           _ZL34rocblas_ger_double_buffered_kernelILb0ELi64ELi16ELi2E19rocblas_complex_numIfE24rocblas_internal_val_ptrIS1_EPKPKS1_PKPS1_EvbiiT4_lT5_lllSC_lllT6_lmli
    .private_segment_fixed_size: 0
    .sgpr_count:     42
    .sgpr_spill_count: 0
    .symbol:         _ZL34rocblas_ger_double_buffered_kernelILb0ELi64ELi16ELi2E19rocblas_complex_numIfE24rocblas_internal_val_ptrIS1_EPKPKS1_PKPS1_EvbiiT4_lT5_lllSC_lllT6_lmli.kd
    .uniform_work_group_size: 1
    .uses_dynamic_stack: false
    .vgpr_count:     46
    .vgpr_spill_count: 0
    .wavefront_size: 32
  - .args:
      - .offset:         0
        .size:           4
        .value_kind:     by_value
      - .offset:         4
        .size:           4
        .value_kind:     by_value
      - .address_space:  global
        .offset:         8
        .size:           8
        .value_kind:     global_buffer
      - .offset:         16
        .size:           8
        .value_kind:     by_value
      - .address_space:  global
        .offset:         24
        .size:           8
        .value_kind:     global_buffer
      - .offset:         32
        .size:           8
        .value_kind:     by_value
      - .offset:         40
        .size:           8
        .value_kind:     by_value
      - .offset:         48
        .size:           8
        .value_kind:     by_value
      - .address_space:  global
        .offset:         56
        .size:           8
        .value_kind:     global_buffer
      - .offset:         64
        .size:           8
        .value_kind:     by_value
      - .offset:         72
        .size:           8
        .value_kind:     by_value
      - .offset:         80
        .size:           8
        .value_kind:     by_value
      - .address_space:  global
        .offset:         88
        .size:           8
        .value_kind:     global_buffer
      - .offset:         96
        .size:           8
        .value_kind:     by_value
      - .offset:         104
        .size:           8
        .value_kind:     by_value
      - .offset:         112
        .size:           8
        .value_kind:     by_value
    .group_segment_fixed_size: 0
    .kernarg_segment_align: 8
    .kernarg_segment_size: 120
    .language:       OpenCL C
    .language_version:
      - 2
      - 0
    .max_flat_workgroup_size: 256
    .name:           _ZL26rocblas_sger_gfx942_kernelILi256E19rocblas_complex_numIfEPKS1_PKS3_PKPS1_EviiT1_lT2_lllSA_lllT3_lll
    .private_segment_fixed_size: 0
    .sgpr_count:     0
    .sgpr_spill_count: 0
    .symbol:         _ZL26rocblas_sger_gfx942_kernelILi256E19rocblas_complex_numIfEPKS1_PKS3_PKPS1_EviiT1_lT2_lllSA_lllT3_lll.kd
    .uniform_work_group_size: 1
    .uses_dynamic_stack: false
    .vgpr_count:     0
    .vgpr_spill_count: 0
    .wavefront_size: 32
  - .args:
      - .offset:         0
        .size:           4
        .value_kind:     by_value
      - .offset:         4
        .size:           4
        .value_kind:     by_value
      - .offset:         8
        .size:           8
        .value_kind:     by_value
      - .offset:         16
        .size:           8
        .value_kind:     by_value
      - .address_space:  global
        .offset:         24
        .size:           8
        .value_kind:     global_buffer
      - .offset:         32
        .size:           8
        .value_kind:     by_value
      - .offset:         40
        .size:           8
        .value_kind:     by_value
      - .offset:         48
        .size:           8
        .value_kind:     by_value
      - .address_space:  global
        .offset:         56
        .size:           8
        .value_kind:     global_buffer
      - .offset:         64
        .size:           8
        .value_kind:     by_value
      - .offset:         72
        .size:           8
        .value_kind:     by_value
      - .offset:         80
        .size:           8
        .value_kind:     by_value
      - .address_space:  global
        .offset:         88
        .size:           8
        .value_kind:     global_buffer
      - .offset:         96
        .size:           8
        .value_kind:     by_value
      - .offset:         104
        .size:           8
        .value_kind:     by_value
      - .offset:         112
        .size:           8
        .value_kind:     by_value
    .group_segment_fixed_size: 0
    .kernarg_segment_align: 8
    .kernarg_segment_size: 120
    .language:       OpenCL C
    .language_version:
      - 2
      - 0
    .max_flat_workgroup_size: 256
    .name:           _ZL26rocblas_sger_gfx942_kernelILi256E19rocblas_complex_numIfES1_PKPKS1_PKPS1_EviiT1_lT2_lllSA_lllT3_lll
    .private_segment_fixed_size: 0
    .sgpr_count:     0
    .sgpr_spill_count: 0
    .symbol:         _ZL26rocblas_sger_gfx942_kernelILi256E19rocblas_complex_numIfES1_PKPKS1_PKPS1_EviiT1_lT2_lllSA_lllT3_lll.kd
    .uniform_work_group_size: 1
    .uses_dynamic_stack: false
    .vgpr_count:     0
    .vgpr_spill_count: 0
    .wavefront_size: 32
  - .args:
      - .offset:         0
        .size:           4
        .value_kind:     by_value
      - .offset:         4
        .size:           4
        .value_kind:     by_value
      - .address_space:  global
        .offset:         8
        .size:           8
        .value_kind:     global_buffer
      - .offset:         16
        .size:           8
        .value_kind:     by_value
      - .actual_access:  read_only
        .address_space:  global
        .offset:         24
        .size:           8
        .value_kind:     global_buffer
      - .offset:         32
        .size:           8
        .value_kind:     by_value
      - .offset:         40
        .size:           8
        .value_kind:     by_value
      - .offset:         48
        .size:           8
        .value_kind:     by_value
      - .actual_access:  read_only
        .address_space:  global
        .offset:         56
        .size:           8
        .value_kind:     global_buffer
      - .offset:         64
        .size:           8
        .value_kind:     by_value
      - .offset:         72
        .size:           8
        .value_kind:     by_value
      - .offset:         80
        .size:           8
        .value_kind:     by_value
      - .actual_access:  read_only
        .address_space:  global
        .offset:         88
        .size:           8
        .value_kind:     global_buffer
      - .offset:         96
        .size:           8
        .value_kind:     by_value
      - .offset:         104
        .size:           8
        .value_kind:     by_value
      - .offset:         112
        .size:           8
        .value_kind:     by_value
      - .offset:         120
        .size:           4
        .value_kind:     by_value
    .group_segment_fixed_size: 0
    .kernarg_segment_align: 8
    .kernarg_segment_size: 124
    .language:       OpenCL C
    .language_version:
      - 2
      - 0
    .max_flat_workgroup_size: 1024
    .name:           _ZL19rocblas_sger_kernelILi1024E19rocblas_complex_numIfEPKS1_PKS3_PKPS1_EviiT1_lT2_lllSA_lllT3_lmli
    .private_segment_fixed_size: 0
    .sgpr_count:     34
    .sgpr_spill_count: 0
    .symbol:         _ZL19rocblas_sger_kernelILi1024E19rocblas_complex_numIfEPKS1_PKS3_PKPS1_EviiT1_lT2_lllSA_lllT3_lmli.kd
    .uniform_work_group_size: 1
    .uses_dynamic_stack: false
    .vgpr_count:     22
    .vgpr_spill_count: 0
    .wavefront_size: 32
  - .args:
      - .offset:         0
        .size:           4
        .value_kind:     by_value
      - .offset:         4
        .size:           4
        .value_kind:     by_value
      - .offset:         8
        .size:           8
        .value_kind:     by_value
      - .offset:         16
        .size:           8
        .value_kind:     by_value
      - .actual_access:  read_only
        .address_space:  global
        .offset:         24
        .size:           8
        .value_kind:     global_buffer
      - .offset:         32
        .size:           8
        .value_kind:     by_value
      - .offset:         40
        .size:           8
        .value_kind:     by_value
      - .offset:         48
        .size:           8
        .value_kind:     by_value
      - .actual_access:  read_only
        .address_space:  global
        .offset:         56
        .size:           8
        .value_kind:     global_buffer
      - .offset:         64
        .size:           8
        .value_kind:     by_value
      - .offset:         72
        .size:           8
        .value_kind:     by_value
      - .offset:         80
        .size:           8
        .value_kind:     by_value
      - .actual_access:  read_only
        .address_space:  global
        .offset:         88
        .size:           8
        .value_kind:     global_buffer
      - .offset:         96
        .size:           8
        .value_kind:     by_value
      - .offset:         104
        .size:           8
        .value_kind:     by_value
      - .offset:         112
        .size:           8
        .value_kind:     by_value
      - .offset:         120
        .size:           4
        .value_kind:     by_value
    .group_segment_fixed_size: 0
    .kernarg_segment_align: 8
    .kernarg_segment_size: 124
    .language:       OpenCL C
    .language_version:
      - 2
      - 0
    .max_flat_workgroup_size: 1024
    .name:           _ZL19rocblas_sger_kernelILi1024E19rocblas_complex_numIfES1_PKPKS1_PKPS1_EviiT1_lT2_lllSA_lllT3_lmli
    .private_segment_fixed_size: 0
    .sgpr_count:     32
    .sgpr_spill_count: 0
    .symbol:         _ZL19rocblas_sger_kernelILi1024E19rocblas_complex_numIfES1_PKPKS1_PKPS1_EviiT1_lT2_lllSA_lllT3_lmli.kd
    .uniform_work_group_size: 1
    .uses_dynamic_stack: false
    .vgpr_count:     22
    .vgpr_spill_count: 0
    .wavefront_size: 32
  - .args:
      - .offset:         0
        .size:           4
        .value_kind:     by_value
      - .offset:         4
        .size:           4
        .value_kind:     by_value
      - .address_space:  global
        .offset:         8
        .size:           8
        .value_kind:     global_buffer
      - .offset:         16
        .size:           8
        .value_kind:     by_value
      - .actual_access:  read_only
        .address_space:  global
        .offset:         24
        .size:           8
        .value_kind:     global_buffer
      - .offset:         32
        .size:           8
        .value_kind:     by_value
      - .offset:         40
        .size:           8
        .value_kind:     by_value
      - .offset:         48
        .size:           8
        .value_kind:     by_value
      - .actual_access:  read_only
        .address_space:  global
        .offset:         56
        .size:           8
        .value_kind:     global_buffer
      - .offset:         64
        .size:           8
        .value_kind:     by_value
      - .offset:         72
        .size:           8
        .value_kind:     by_value
      - .offset:         80
        .size:           8
        .value_kind:     by_value
      - .actual_access:  read_only
        .address_space:  global
        .offset:         88
        .size:           8
        .value_kind:     global_buffer
      - .offset:         96
        .size:           8
        .value_kind:     by_value
      - .offset:         104
        .size:           8
        .value_kind:     by_value
      - .offset:         112
        .size:           8
        .value_kind:     by_value
      - .offset:         120
        .size:           4
        .value_kind:     by_value
    .group_segment_fixed_size: 768
    .kernarg_segment_align: 8
    .kernarg_segment_size: 124
    .language:       OpenCL C
    .language_version:
      - 2
      - 0
    .max_flat_workgroup_size: 1024
    .name:           _ZL18rocblas_ger_kernelILi32ELi32ELi2ELb0E19rocblas_complex_numIfEPKS1_PKS3_PKPS1_EviiT4_lT5_lllSA_lllT6_lmli
    .private_segment_fixed_size: 0
    .sgpr_count:     40
    .sgpr_spill_count: 0
    .symbol:         _ZL18rocblas_ger_kernelILi32ELi32ELi2ELb0E19rocblas_complex_numIfEPKS1_PKS3_PKPS1_EviiT4_lT5_lllSA_lllT6_lmli.kd
    .uniform_work_group_size: 1
    .uses_dynamic_stack: false
    .vgpr_count:     30
    .vgpr_spill_count: 0
    .wavefront_size: 32
  - .args:
      - .offset:         0
        .size:           4
        .value_kind:     by_value
      - .offset:         4
        .size:           4
        .value_kind:     by_value
      - .offset:         8
        .size:           8
        .value_kind:     by_value
      - .offset:         16
        .size:           8
        .value_kind:     by_value
      - .actual_access:  read_only
        .address_space:  global
        .offset:         24
        .size:           8
        .value_kind:     global_buffer
      - .offset:         32
        .size:           8
        .value_kind:     by_value
      - .offset:         40
        .size:           8
        .value_kind:     by_value
      - .offset:         48
        .size:           8
        .value_kind:     by_value
      - .actual_access:  read_only
        .address_space:  global
        .offset:         56
        .size:           8
        .value_kind:     global_buffer
      - .offset:         64
        .size:           8
        .value_kind:     by_value
      - .offset:         72
        .size:           8
        .value_kind:     by_value
      - .offset:         80
        .size:           8
        .value_kind:     by_value
      - .actual_access:  read_only
        .address_space:  global
        .offset:         88
        .size:           8
        .value_kind:     global_buffer
      - .offset:         96
        .size:           8
        .value_kind:     by_value
      - .offset:         104
        .size:           8
        .value_kind:     by_value
      - .offset:         112
        .size:           8
        .value_kind:     by_value
      - .offset:         120
        .size:           4
        .value_kind:     by_value
    .group_segment_fixed_size: 768
    .kernarg_segment_align: 8
    .kernarg_segment_size: 124
    .language:       OpenCL C
    .language_version:
      - 2
      - 0
    .max_flat_workgroup_size: 1024
    .name:           _ZL18rocblas_ger_kernelILi32ELi32ELi2ELb0E19rocblas_complex_numIfES1_PKPKS1_PKPS1_EviiT4_lT5_lllSA_lllT6_lmli
    .private_segment_fixed_size: 0
    .sgpr_count:     34
    .sgpr_spill_count: 0
    .symbol:         _ZL18rocblas_ger_kernelILi32ELi32ELi2ELb0E19rocblas_complex_numIfES1_PKPKS1_PKPS1_EviiT4_lT5_lllSA_lllT6_lmli.kd
    .uniform_work_group_size: 1
    .uses_dynamic_stack: false
    .vgpr_count:     28
    .vgpr_spill_count: 0
    .wavefront_size: 32
  - .args:
      - .offset:         0
        .size:           1
        .value_kind:     by_value
      - .offset:         4
        .size:           4
        .value_kind:     by_value
      - .offset:         8
        .size:           4
        .value_kind:     by_value
      - .offset:         16
        .size:           16
        .value_kind:     by_value
      - .offset:         32
        .size:           8
        .value_kind:     by_value
      - .actual_access:  read_only
        .address_space:  global
        .offset:         40
        .size:           8
        .value_kind:     global_buffer
      - .offset:         48
        .size:           8
        .value_kind:     by_value
      - .offset:         56
        .size:           8
        .value_kind:     by_value
      - .offset:         64
        .size:           8
        .value_kind:     by_value
      - .actual_access:  read_only
        .address_space:  global
        .offset:         72
        .size:           8
        .value_kind:     global_buffer
      - .offset:         80
        .size:           8
        .value_kind:     by_value
      - .offset:         88
        .size:           8
        .value_kind:     by_value
      - .offset:         96
        .size:           8
        .value_kind:     by_value
      - .actual_access:  read_only
        .address_space:  global
        .offset:         104
        .size:           8
        .value_kind:     global_buffer
      - .offset:         112
        .size:           8
        .value_kind:     by_value
      - .offset:         120
        .size:           8
        .value_kind:     by_value
      - .offset:         128
        .size:           8
        .value_kind:     by_value
      - .offset:         136
        .size:           4
        .value_kind:     by_value
    .group_segment_fixed_size: 0
    .kernarg_segment_align: 8
    .kernarg_segment_size: 140
    .language:       OpenCL C
    .language_version:
      - 2
      - 0
    .max_flat_workgroup_size: 1024
    .name:           _ZL34rocblas_ger_double_buffered_kernelILb0ELi64ELi16ELi2E19rocblas_complex_numIdE24rocblas_internal_val_ptrIS1_EPKPKS1_PKPS1_EvbiiT4_lT5_lllSC_lllT6_lmli
    .private_segment_fixed_size: 0
    .sgpr_count:     40
    .sgpr_spill_count: 0
    .symbol:         _ZL34rocblas_ger_double_buffered_kernelILb0ELi64ELi16ELi2E19rocblas_complex_numIdE24rocblas_internal_val_ptrIS1_EPKPKS1_PKPS1_EvbiiT4_lT5_lllSC_lllT6_lmli.kd
    .uniform_work_group_size: 1
    .uses_dynamic_stack: false
    .vgpr_count:     58
    .vgpr_spill_count: 0
    .wavefront_size: 32
  - .args:
      - .offset:         0
        .size:           4
        .value_kind:     by_value
      - .offset:         4
        .size:           4
        .value_kind:     by_value
      - .address_space:  global
        .offset:         8
        .size:           8
        .value_kind:     global_buffer
      - .offset:         16
        .size:           8
        .value_kind:     by_value
      - .address_space:  global
        .offset:         24
        .size:           8
        .value_kind:     global_buffer
      - .offset:         32
        .size:           8
        .value_kind:     by_value
      - .offset:         40
        .size:           8
        .value_kind:     by_value
      - .offset:         48
        .size:           8
        .value_kind:     by_value
      - .address_space:  global
        .offset:         56
        .size:           8
        .value_kind:     global_buffer
      - .offset:         64
        .size:           8
        .value_kind:     by_value
      - .offset:         72
        .size:           8
        .value_kind:     by_value
      - .offset:         80
        .size:           8
        .value_kind:     by_value
      - .address_space:  global
        .offset:         88
        .size:           8
        .value_kind:     global_buffer
      - .offset:         96
        .size:           8
        .value_kind:     by_value
      - .offset:         104
        .size:           8
        .value_kind:     by_value
      - .offset:         112
        .size:           8
        .value_kind:     by_value
    .group_segment_fixed_size: 0
    .kernarg_segment_align: 8
    .kernarg_segment_size: 120
    .language:       OpenCL C
    .language_version:
      - 2
      - 0
    .max_flat_workgroup_size: 256
    .name:           _ZL26rocblas_sger_gfx942_kernelILi256E19rocblas_complex_numIdEPKS1_PKS3_PKPS1_EviiT1_lT2_lllSA_lllT3_lll
    .private_segment_fixed_size: 0
    .sgpr_count:     0
    .sgpr_spill_count: 0
    .symbol:         _ZL26rocblas_sger_gfx942_kernelILi256E19rocblas_complex_numIdEPKS1_PKS3_PKPS1_EviiT1_lT2_lllSA_lllT3_lll.kd
    .uniform_work_group_size: 1
    .uses_dynamic_stack: false
    .vgpr_count:     0
    .vgpr_spill_count: 0
    .wavefront_size: 32
  - .args:
      - .offset:         0
        .size:           4
        .value_kind:     by_value
      - .offset:         4
        .size:           4
        .value_kind:     by_value
      - .offset:         8
        .size:           16
        .value_kind:     by_value
      - .offset:         24
        .size:           8
        .value_kind:     by_value
      - .address_space:  global
        .offset:         32
        .size:           8
        .value_kind:     global_buffer
      - .offset:         40
        .size:           8
        .value_kind:     by_value
      - .offset:         48
        .size:           8
        .value_kind:     by_value
      - .offset:         56
        .size:           8
        .value_kind:     by_value
      - .address_space:  global
        .offset:         64
        .size:           8
        .value_kind:     global_buffer
      - .offset:         72
        .size:           8
        .value_kind:     by_value
      - .offset:         80
        .size:           8
        .value_kind:     by_value
      - .offset:         88
        .size:           8
        .value_kind:     by_value
      - .address_space:  global
        .offset:         96
        .size:           8
        .value_kind:     global_buffer
      - .offset:         104
        .size:           8
        .value_kind:     by_value
      - .offset:         112
        .size:           8
        .value_kind:     by_value
      - .offset:         120
        .size:           8
        .value_kind:     by_value
    .group_segment_fixed_size: 0
    .kernarg_segment_align: 8
    .kernarg_segment_size: 128
    .language:       OpenCL C
    .language_version:
      - 2
      - 0
    .max_flat_workgroup_size: 256
    .name:           _ZL26rocblas_sger_gfx942_kernelILi256E19rocblas_complex_numIdES1_PKPKS1_PKPS1_EviiT1_lT2_lllSA_lllT3_lll
    .private_segment_fixed_size: 0
    .sgpr_count:     0
    .sgpr_spill_count: 0
    .symbol:         _ZL26rocblas_sger_gfx942_kernelILi256E19rocblas_complex_numIdES1_PKPKS1_PKPS1_EviiT1_lT2_lllSA_lllT3_lll.kd
    .uniform_work_group_size: 1
    .uses_dynamic_stack: false
    .vgpr_count:     0
    .vgpr_spill_count: 0
    .wavefront_size: 32
  - .args:
      - .offset:         0
        .size:           4
        .value_kind:     by_value
      - .offset:         4
        .size:           4
        .value_kind:     by_value
      - .address_space:  global
        .offset:         8
        .size:           8
        .value_kind:     global_buffer
      - .offset:         16
        .size:           8
        .value_kind:     by_value
      - .actual_access:  read_only
        .address_space:  global
        .offset:         24
        .size:           8
        .value_kind:     global_buffer
      - .offset:         32
        .size:           8
        .value_kind:     by_value
      - .offset:         40
        .size:           8
        .value_kind:     by_value
      - .offset:         48
        .size:           8
        .value_kind:     by_value
      - .actual_access:  read_only
        .address_space:  global
        .offset:         56
        .size:           8
        .value_kind:     global_buffer
      - .offset:         64
        .size:           8
        .value_kind:     by_value
      - .offset:         72
        .size:           8
        .value_kind:     by_value
      - .offset:         80
        .size:           8
        .value_kind:     by_value
      - .actual_access:  read_only
        .address_space:  global
        .offset:         88
        .size:           8
        .value_kind:     global_buffer
      - .offset:         96
        .size:           8
        .value_kind:     by_value
      - .offset:         104
        .size:           8
        .value_kind:     by_value
      - .offset:         112
        .size:           8
        .value_kind:     by_value
      - .offset:         120
        .size:           4
        .value_kind:     by_value
    .group_segment_fixed_size: 0
    .kernarg_segment_align: 8
    .kernarg_segment_size: 124
    .language:       OpenCL C
    .language_version:
      - 2
      - 0
    .max_flat_workgroup_size: 1024
    .name:           _ZL19rocblas_sger_kernelILi1024E19rocblas_complex_numIdEPKS1_PKS3_PKPS1_EviiT1_lT2_lllSA_lllT3_lmli
    .private_segment_fixed_size: 0
    .sgpr_count:     34
    .sgpr_spill_count: 0
    .symbol:         _ZL19rocblas_sger_kernelILi1024E19rocblas_complex_numIdEPKS1_PKS3_PKPS1_EviiT1_lT2_lllSA_lllT3_lmli.kd
    .uniform_work_group_size: 1
    .uses_dynamic_stack: false
    .vgpr_count:     26
    .vgpr_spill_count: 0
    .wavefront_size: 32
  - .args:
      - .offset:         0
        .size:           4
        .value_kind:     by_value
      - .offset:         4
        .size:           4
        .value_kind:     by_value
      - .offset:         8
        .size:           16
        .value_kind:     by_value
      - .offset:         24
        .size:           8
        .value_kind:     by_value
      - .actual_access:  read_only
        .address_space:  global
        .offset:         32
        .size:           8
        .value_kind:     global_buffer
      - .offset:         40
        .size:           8
        .value_kind:     by_value
      - .offset:         48
        .size:           8
        .value_kind:     by_value
      - .offset:         56
        .size:           8
        .value_kind:     by_value
      - .actual_access:  read_only
        .address_space:  global
        .offset:         64
        .size:           8
        .value_kind:     global_buffer
      - .offset:         72
        .size:           8
        .value_kind:     by_value
      - .offset:         80
        .size:           8
        .value_kind:     by_value
      - .offset:         88
        .size:           8
        .value_kind:     by_value
      - .actual_access:  read_only
        .address_space:  global
        .offset:         96
        .size:           8
        .value_kind:     global_buffer
      - .offset:         104
        .size:           8
        .value_kind:     by_value
      - .offset:         112
        .size:           8
        .value_kind:     by_value
      - .offset:         120
        .size:           8
        .value_kind:     by_value
      - .offset:         128
        .size:           4
        .value_kind:     by_value
    .group_segment_fixed_size: 0
    .kernarg_segment_align: 8
    .kernarg_segment_size: 132
    .language:       OpenCL C
    .language_version:
      - 2
      - 0
    .max_flat_workgroup_size: 1024
    .name:           _ZL19rocblas_sger_kernelILi1024E19rocblas_complex_numIdES1_PKPKS1_PKPS1_EviiT1_lT2_lllSA_lllT3_lmli
    .private_segment_fixed_size: 0
    .sgpr_count:     34
    .sgpr_spill_count: 0
    .symbol:         _ZL19rocblas_sger_kernelILi1024E19rocblas_complex_numIdES1_PKPKS1_PKPS1_EviiT1_lT2_lllSA_lllT3_lmli.kd
    .uniform_work_group_size: 1
    .uses_dynamic_stack: false
    .vgpr_count:     26
    .vgpr_spill_count: 0
    .wavefront_size: 32
  - .args:
      - .offset:         0
        .size:           4
        .value_kind:     by_value
      - .offset:         4
        .size:           4
        .value_kind:     by_value
      - .address_space:  global
        .offset:         8
        .size:           8
        .value_kind:     global_buffer
      - .offset:         16
        .size:           8
        .value_kind:     by_value
      - .actual_access:  read_only
        .address_space:  global
        .offset:         24
        .size:           8
        .value_kind:     global_buffer
      - .offset:         32
        .size:           8
        .value_kind:     by_value
      - .offset:         40
        .size:           8
        .value_kind:     by_value
      - .offset:         48
        .size:           8
        .value_kind:     by_value
      - .actual_access:  read_only
        .address_space:  global
        .offset:         56
        .size:           8
        .value_kind:     global_buffer
      - .offset:         64
        .size:           8
        .value_kind:     by_value
      - .offset:         72
        .size:           8
        .value_kind:     by_value
      - .offset:         80
        .size:           8
        .value_kind:     by_value
      - .actual_access:  read_only
        .address_space:  global
        .offset:         88
        .size:           8
        .value_kind:     global_buffer
      - .offset:         96
        .size:           8
        .value_kind:     by_value
      - .offset:         104
        .size:           8
        .value_kind:     by_value
      - .offset:         112
        .size:           8
        .value_kind:     by_value
      - .offset:         120
        .size:           4
        .value_kind:     by_value
    .group_segment_fixed_size: 1536
    .kernarg_segment_align: 8
    .kernarg_segment_size: 124
    .language:       OpenCL C
    .language_version:
      - 2
      - 0
    .max_flat_workgroup_size: 1024
    .name:           _ZL18rocblas_ger_kernelILi32ELi32ELi2ELb0E19rocblas_complex_numIdEPKS1_PKS3_PKPS1_EviiT4_lT5_lllSA_lllT6_lmli
    .private_segment_fixed_size: 0
    .sgpr_count:     40
    .sgpr_spill_count: 0
    .symbol:         _ZL18rocblas_ger_kernelILi32ELi32ELi2ELb0E19rocblas_complex_numIdEPKS1_PKS3_PKPS1_EviiT4_lT5_lllSA_lllT6_lmli.kd
    .uniform_work_group_size: 1
    .uses_dynamic_stack: false
    .vgpr_count:     32
    .vgpr_spill_count: 0
    .wavefront_size: 32
  - .args:
      - .offset:         0
        .size:           4
        .value_kind:     by_value
      - .offset:         4
        .size:           4
        .value_kind:     by_value
      - .offset:         8
        .size:           16
        .value_kind:     by_value
      - .offset:         24
        .size:           8
        .value_kind:     by_value
      - .actual_access:  read_only
        .address_space:  global
        .offset:         32
        .size:           8
        .value_kind:     global_buffer
      - .offset:         40
        .size:           8
        .value_kind:     by_value
      - .offset:         48
        .size:           8
        .value_kind:     by_value
      - .offset:         56
        .size:           8
        .value_kind:     by_value
      - .actual_access:  read_only
        .address_space:  global
        .offset:         64
        .size:           8
        .value_kind:     global_buffer
      - .offset:         72
        .size:           8
        .value_kind:     by_value
      - .offset:         80
        .size:           8
        .value_kind:     by_value
      - .offset:         88
        .size:           8
        .value_kind:     by_value
      - .actual_access:  read_only
        .address_space:  global
        .offset:         96
        .size:           8
        .value_kind:     global_buffer
      - .offset:         104
        .size:           8
        .value_kind:     by_value
      - .offset:         112
        .size:           8
        .value_kind:     by_value
      - .offset:         120
        .size:           8
        .value_kind:     by_value
      - .offset:         128
        .size:           4
        .value_kind:     by_value
    .group_segment_fixed_size: 1536
    .kernarg_segment_align: 8
    .kernarg_segment_size: 132
    .language:       OpenCL C
    .language_version:
      - 2
      - 0
    .max_flat_workgroup_size: 1024
    .name:           _ZL18rocblas_ger_kernelILi32ELi32ELi2ELb0E19rocblas_complex_numIdES1_PKPKS1_PKPS1_EviiT4_lT5_lllSA_lllT6_lmli
    .private_segment_fixed_size: 0
    .sgpr_count:     38
    .sgpr_spill_count: 0
    .symbol:         _ZL18rocblas_ger_kernelILi32ELi32ELi2ELb0E19rocblas_complex_numIdES1_PKPKS1_PKPS1_EviiT4_lT5_lllSA_lllT6_lmli.kd
    .uniform_work_group_size: 1
    .uses_dynamic_stack: false
    .vgpr_count:     32
    .vgpr_spill_count: 0
    .wavefront_size: 32
  - .args:
      - .offset:         0
        .size:           1
        .value_kind:     by_value
      - .offset:         4
        .size:           4
        .value_kind:     by_value
      - .offset:         8
        .size:           4
        .value_kind:     by_value
      - .offset:         16
        .size:           8
        .value_kind:     by_value
      - .offset:         24
        .size:           8
        .value_kind:     by_value
      - .actual_access:  read_only
        .address_space:  global
        .offset:         32
        .size:           8
        .value_kind:     global_buffer
      - .offset:         40
        .size:           8
        .value_kind:     by_value
      - .offset:         48
        .size:           8
        .value_kind:     by_value
      - .offset:         56
        .size:           8
        .value_kind:     by_value
      - .actual_access:  read_only
        .address_space:  global
        .offset:         64
        .size:           8
        .value_kind:     global_buffer
      - .offset:         72
        .size:           8
        .value_kind:     by_value
      - .offset:         80
        .size:           8
        .value_kind:     by_value
      - .offset:         88
        .size:           8
        .value_kind:     by_value
      - .actual_access:  read_only
        .address_space:  global
        .offset:         96
        .size:           8
        .value_kind:     global_buffer
      - .offset:         104
        .size:           8
        .value_kind:     by_value
      - .offset:         112
        .size:           8
        .value_kind:     by_value
      - .offset:         120
        .size:           8
        .value_kind:     by_value
      - .offset:         128
        .size:           4
        .value_kind:     by_value
    .group_segment_fixed_size: 0
    .kernarg_segment_align: 8
    .kernarg_segment_size: 132
    .language:       OpenCL C
    .language_version:
      - 2
      - 0
    .max_flat_workgroup_size: 1024
    .name:           _ZL34rocblas_ger_double_buffered_kernelILb1ELi64ELi16ELi2E19rocblas_complex_numIfE24rocblas_internal_val_ptrIS1_EPKPKS1_PKPS1_EvbiiT4_lT5_lllSC_lllT6_lmli
    .private_segment_fixed_size: 0
    .sgpr_count:     42
    .sgpr_spill_count: 0
    .symbol:         _ZL34rocblas_ger_double_buffered_kernelILb1ELi64ELi16ELi2E19rocblas_complex_numIfE24rocblas_internal_val_ptrIS1_EPKPKS1_PKPS1_EvbiiT4_lT5_lllSC_lllT6_lmli.kd
    .uniform_work_group_size: 1
    .uses_dynamic_stack: false
    .vgpr_count:     46
    .vgpr_spill_count: 0
    .wavefront_size: 32
  - .args:
      - .offset:         0
        .size:           4
        .value_kind:     by_value
      - .offset:         4
        .size:           4
        .value_kind:     by_value
      - .address_space:  global
        .offset:         8
        .size:           8
        .value_kind:     global_buffer
      - .offset:         16
        .size:           8
        .value_kind:     by_value
      - .actual_access:  read_only
        .address_space:  global
        .offset:         24
        .size:           8
        .value_kind:     global_buffer
      - .offset:         32
        .size:           8
        .value_kind:     by_value
      - .offset:         40
        .size:           8
        .value_kind:     by_value
      - .offset:         48
        .size:           8
        .value_kind:     by_value
      - .actual_access:  read_only
        .address_space:  global
        .offset:         56
        .size:           8
        .value_kind:     global_buffer
      - .offset:         64
        .size:           8
        .value_kind:     by_value
      - .offset:         72
        .size:           8
        .value_kind:     by_value
      - .offset:         80
        .size:           8
        .value_kind:     by_value
      - .actual_access:  read_only
        .address_space:  global
        .offset:         88
        .size:           8
        .value_kind:     global_buffer
      - .offset:         96
        .size:           8
        .value_kind:     by_value
      - .offset:         104
        .size:           8
        .value_kind:     by_value
      - .offset:         112
        .size:           8
        .value_kind:     by_value
      - .offset:         120
        .size:           4
        .value_kind:     by_value
    .group_segment_fixed_size: 768
    .kernarg_segment_align: 8
    .kernarg_segment_size: 124
    .language:       OpenCL C
    .language_version:
      - 2
      - 0
    .max_flat_workgroup_size: 1024
    .name:           _ZL18rocblas_ger_kernelILi32ELi32ELi2ELb1E19rocblas_complex_numIfEPKS1_PKS3_PKPS1_EviiT4_lT5_lllSA_lllT6_lmli
    .private_segment_fixed_size: 0
    .sgpr_count:     40
    .sgpr_spill_count: 0
    .symbol:         _ZL18rocblas_ger_kernelILi32ELi32ELi2ELb1E19rocblas_complex_numIfEPKS1_PKS3_PKPS1_EviiT4_lT5_lllSA_lllT6_lmli.kd
    .uniform_work_group_size: 1
    .uses_dynamic_stack: false
    .vgpr_count:     30
    .vgpr_spill_count: 0
    .wavefront_size: 32
  - .args:
      - .offset:         0
        .size:           4
        .value_kind:     by_value
      - .offset:         4
        .size:           4
        .value_kind:     by_value
      - .offset:         8
        .size:           8
        .value_kind:     by_value
      - .offset:         16
        .size:           8
        .value_kind:     by_value
      - .actual_access:  read_only
        .address_space:  global
        .offset:         24
        .size:           8
        .value_kind:     global_buffer
      - .offset:         32
        .size:           8
        .value_kind:     by_value
      - .offset:         40
        .size:           8
        .value_kind:     by_value
      - .offset:         48
        .size:           8
        .value_kind:     by_value
      - .actual_access:  read_only
        .address_space:  global
        .offset:         56
        .size:           8
        .value_kind:     global_buffer
      - .offset:         64
        .size:           8
        .value_kind:     by_value
      - .offset:         72
        .size:           8
        .value_kind:     by_value
      - .offset:         80
        .size:           8
        .value_kind:     by_value
      - .actual_access:  read_only
        .address_space:  global
        .offset:         88
        .size:           8
        .value_kind:     global_buffer
      - .offset:         96
        .size:           8
        .value_kind:     by_value
      - .offset:         104
        .size:           8
        .value_kind:     by_value
      - .offset:         112
        .size:           8
        .value_kind:     by_value
      - .offset:         120
        .size:           4
        .value_kind:     by_value
    .group_segment_fixed_size: 768
    .kernarg_segment_align: 8
    .kernarg_segment_size: 124
    .language:       OpenCL C
    .language_version:
      - 2
      - 0
    .max_flat_workgroup_size: 1024
    .name:           _ZL18rocblas_ger_kernelILi32ELi32ELi2ELb1E19rocblas_complex_numIfES1_PKPKS1_PKPS1_EviiT4_lT5_lllSA_lllT6_lmli
    .private_segment_fixed_size: 0
    .sgpr_count:     34
    .sgpr_spill_count: 0
    .symbol:         _ZL18rocblas_ger_kernelILi32ELi32ELi2ELb1E19rocblas_complex_numIfES1_PKPKS1_PKPS1_EviiT4_lT5_lllSA_lllT6_lmli.kd
    .uniform_work_group_size: 1
    .uses_dynamic_stack: false
    .vgpr_count:     28
    .vgpr_spill_count: 0
    .wavefront_size: 32
  - .args:
      - .offset:         0
        .size:           1
        .value_kind:     by_value
      - .offset:         4
        .size:           4
        .value_kind:     by_value
      - .offset:         8
        .size:           4
        .value_kind:     by_value
      - .offset:         16
        .size:           16
        .value_kind:     by_value
      - .offset:         32
        .size:           8
        .value_kind:     by_value
      - .actual_access:  read_only
        .address_space:  global
        .offset:         40
        .size:           8
        .value_kind:     global_buffer
      - .offset:         48
        .size:           8
        .value_kind:     by_value
      - .offset:         56
        .size:           8
        .value_kind:     by_value
      - .offset:         64
        .size:           8
        .value_kind:     by_value
      - .actual_access:  read_only
        .address_space:  global
        .offset:         72
        .size:           8
        .value_kind:     global_buffer
      - .offset:         80
        .size:           8
        .value_kind:     by_value
      - .offset:         88
        .size:           8
        .value_kind:     by_value
      - .offset:         96
        .size:           8
        .value_kind:     by_value
      - .actual_access:  read_only
        .address_space:  global
        .offset:         104
        .size:           8
        .value_kind:     global_buffer
      - .offset:         112
        .size:           8
        .value_kind:     by_value
      - .offset:         120
        .size:           8
        .value_kind:     by_value
      - .offset:         128
        .size:           8
        .value_kind:     by_value
      - .offset:         136
        .size:           4
        .value_kind:     by_value
    .group_segment_fixed_size: 0
    .kernarg_segment_align: 8
    .kernarg_segment_size: 140
    .language:       OpenCL C
    .language_version:
      - 2
      - 0
    .max_flat_workgroup_size: 1024
    .name:           _ZL34rocblas_ger_double_buffered_kernelILb1ELi64ELi16ELi2E19rocblas_complex_numIdE24rocblas_internal_val_ptrIS1_EPKPKS1_PKPS1_EvbiiT4_lT5_lllSC_lllT6_lmli
    .private_segment_fixed_size: 0
    .sgpr_count:     40
    .sgpr_spill_count: 0
    .symbol:         _ZL34rocblas_ger_double_buffered_kernelILb1ELi64ELi16ELi2E19rocblas_complex_numIdE24rocblas_internal_val_ptrIS1_EPKPKS1_PKPS1_EvbiiT4_lT5_lllSC_lllT6_lmli.kd
    .uniform_work_group_size: 1
    .uses_dynamic_stack: false
    .vgpr_count:     60
    .vgpr_spill_count: 0
    .wavefront_size: 32
  - .args:
      - .offset:         0
        .size:           4
        .value_kind:     by_value
      - .offset:         4
        .size:           4
        .value_kind:     by_value
      - .address_space:  global
        .offset:         8
        .size:           8
        .value_kind:     global_buffer
      - .offset:         16
        .size:           8
        .value_kind:     by_value
      - .actual_access:  read_only
        .address_space:  global
        .offset:         24
        .size:           8
        .value_kind:     global_buffer
      - .offset:         32
        .size:           8
        .value_kind:     by_value
      - .offset:         40
        .size:           8
        .value_kind:     by_value
      - .offset:         48
        .size:           8
        .value_kind:     by_value
      - .actual_access:  read_only
        .address_space:  global
        .offset:         56
        .size:           8
        .value_kind:     global_buffer
      - .offset:         64
        .size:           8
        .value_kind:     by_value
      - .offset:         72
        .size:           8
        .value_kind:     by_value
      - .offset:         80
        .size:           8
        .value_kind:     by_value
      - .actual_access:  read_only
        .address_space:  global
        .offset:         88
        .size:           8
        .value_kind:     global_buffer
      - .offset:         96
        .size:           8
        .value_kind:     by_value
      - .offset:         104
        .size:           8
        .value_kind:     by_value
      - .offset:         112
        .size:           8
        .value_kind:     by_value
      - .offset:         120
        .size:           4
        .value_kind:     by_value
    .group_segment_fixed_size: 1536
    .kernarg_segment_align: 8
    .kernarg_segment_size: 124
    .language:       OpenCL C
    .language_version:
      - 2
      - 0
    .max_flat_workgroup_size: 1024
    .name:           _ZL18rocblas_ger_kernelILi32ELi32ELi2ELb1E19rocblas_complex_numIdEPKS1_PKS3_PKPS1_EviiT4_lT5_lllSA_lllT6_lmli
    .private_segment_fixed_size: 0
    .sgpr_count:     40
    .sgpr_spill_count: 0
    .symbol:         _ZL18rocblas_ger_kernelILi32ELi32ELi2ELb1E19rocblas_complex_numIdEPKS1_PKS3_PKPS1_EviiT4_lT5_lllSA_lllT6_lmli.kd
    .uniform_work_group_size: 1
    .uses_dynamic_stack: false
    .vgpr_count:     32
    .vgpr_spill_count: 0
    .wavefront_size: 32
  - .args:
      - .offset:         0
        .size:           4
        .value_kind:     by_value
      - .offset:         4
        .size:           4
        .value_kind:     by_value
      - .offset:         8
        .size:           16
        .value_kind:     by_value
      - .offset:         24
        .size:           8
        .value_kind:     by_value
      - .actual_access:  read_only
        .address_space:  global
        .offset:         32
        .size:           8
        .value_kind:     global_buffer
      - .offset:         40
        .size:           8
        .value_kind:     by_value
      - .offset:         48
        .size:           8
        .value_kind:     by_value
      - .offset:         56
        .size:           8
        .value_kind:     by_value
      - .actual_access:  read_only
        .address_space:  global
        .offset:         64
        .size:           8
        .value_kind:     global_buffer
      - .offset:         72
        .size:           8
        .value_kind:     by_value
      - .offset:         80
        .size:           8
        .value_kind:     by_value
      - .offset:         88
        .size:           8
        .value_kind:     by_value
      - .actual_access:  read_only
        .address_space:  global
        .offset:         96
        .size:           8
        .value_kind:     global_buffer
      - .offset:         104
        .size:           8
        .value_kind:     by_value
      - .offset:         112
        .size:           8
        .value_kind:     by_value
      - .offset:         120
        .size:           8
        .value_kind:     by_value
      - .offset:         128
        .size:           4
        .value_kind:     by_value
    .group_segment_fixed_size: 1536
    .kernarg_segment_align: 8
    .kernarg_segment_size: 132
    .language:       OpenCL C
    .language_version:
      - 2
      - 0
    .max_flat_workgroup_size: 1024
    .name:           _ZL18rocblas_ger_kernelILi32ELi32ELi2ELb1E19rocblas_complex_numIdES1_PKPKS1_PKPS1_EviiT4_lT5_lllSA_lllT6_lmli
    .private_segment_fixed_size: 0
    .sgpr_count:     38
    .sgpr_spill_count: 0
    .symbol:         _ZL18rocblas_ger_kernelILi32ELi32ELi2ELb1E19rocblas_complex_numIdES1_PKPKS1_PKPS1_EviiT4_lT5_lllSA_lllT6_lmli.kd
    .uniform_work_group_size: 1
    .uses_dynamic_stack: false
    .vgpr_count:     32
    .vgpr_spill_count: 0
    .wavefront_size: 32
amdhsa.target:   amdgcn-amd-amdhsa--gfx1250
amdhsa.version:
  - 1
  - 2
...

	.end_amdgpu_metadata
